;; amdgpu-corpus repo=ROCm/rocFFT kind=compiled arch=gfx1030 opt=O3
	.text
	.amdgcn_target "amdgcn-amd-amdhsa--gfx1030"
	.amdhsa_code_object_version 6
	.protected	fft_rtc_fwd_len289_factors_17_17_wgs_119_tpt_17_dp_op_CI_CI_sbcc_twdbase6_3step_dirReg_intrinsicRead ; -- Begin function fft_rtc_fwd_len289_factors_17_17_wgs_119_tpt_17_dp_op_CI_CI_sbcc_twdbase6_3step_dirReg_intrinsicRead
	.globl	fft_rtc_fwd_len289_factors_17_17_wgs_119_tpt_17_dp_op_CI_CI_sbcc_twdbase6_3step_dirReg_intrinsicRead
	.p2align	8
	.type	fft_rtc_fwd_len289_factors_17_17_wgs_119_tpt_17_dp_op_CI_CI_sbcc_twdbase6_3step_dirReg_intrinsicRead,@function
fft_rtc_fwd_len289_factors_17_17_wgs_119_tpt_17_dp_op_CI_CI_sbcc_twdbase6_3step_dirReg_intrinsicRead: ; @fft_rtc_fwd_len289_factors_17_17_wgs_119_tpt_17_dp_op_CI_CI_sbcc_twdbase6_3step_dirReg_intrinsicRead
; %bb.0:
	s_clause 0x3
	s_load_dwordx2 s[26:27], s[4:5], 0x0
	s_load_dwordx8 s[8:15], s[4:5], 0x8
	s_load_dwordx4 s[16:19], s[4:5], 0x60
	s_load_dwordx2 s[62:63], s[4:5], 0x28
	s_mov_b64 s[70:71], s[2:3]
	s_mov_b64 s[68:69], s[0:1]
	v_mov_b32_e32 v255, v0
	s_add_u32 s68, s68, s7
	s_addc_u32 s69, s69, 0
	s_mov_b32 s1, exec_lo
	v_cmpx_gt_u32_e32 0xc0, v255
	s_cbranch_execz .LBB0_3
; %bb.1:
	v_lshlrev_b32_e32 v0, 4, v255
	v_add_co_u32 v1, s0, 0xffffff89, v255
	v_add_co_ci_u32_e64 v2, null, 0, -1, s0
	s_waitcnt lgkmcnt(0)
	v_add_co_u32 v3, s0, s8, v0
	v_add_co_ci_u32_e64 v4, null, s9, 0, s0
	v_add3_u32 v5, v0, 0, 0x7e70
	s_mov_b32 s2, 0
	.p2align	6
.LBB0_2:                                ; =>This Inner Loop Header: Depth=1
	global_load_dwordx4 v[6:9], v[3:4], off
	v_add_co_u32 v1, vcc_lo, 0x77, v1
	v_add_co_ci_u32_e32 v2, vcc_lo, 0, v2, vcc_lo
	v_add_co_u32 v3, vcc_lo, 0x770, v3
	v_add_co_ci_u32_e32 v4, vcc_lo, 0, v4, vcc_lo
	v_cmp_lt_u64_e64 s0, 0x48, v[1:2]
	s_or_b32 s2, s0, s2
	s_waitcnt vmcnt(0)
	ds_write2_b64 v5, v[6:7], v[8:9] offset1:1
	v_add_nc_u32_e32 v5, 0x770, v5
	s_andn2_b32 exec_lo, exec_lo, s2
	s_cbranch_execnz .LBB0_2
.LBB0_3:
	s_or_b32 exec_lo, exec_lo, s1
	s_waitcnt lgkmcnt(0)
	s_load_dwordx2 s[4:5], s[12:13], 0x8
	s_mov_b64 s[24:25], 0
	s_waitcnt lgkmcnt(0)
	s_add_u32 s0, s4, -1
	s_addc_u32 s1, s5, -1
	s_add_u32 s2, 0, 0x92481000
	s_addc_u32 s3, 0, 0x64
	s_mul_hi_u32 s8, s2, -7
	s_add_i32 s3, s3, 0x249248c0
	s_sub_i32 s8, s8, s2
	s_mul_i32 s20, s3, -7
	s_mul_i32 s7, s2, -7
	s_add_i32 s8, s8, s20
	s_mul_hi_u32 s9, s2, s7
	s_mul_i32 s22, s2, s8
	s_mul_hi_u32 s20, s2, s8
	s_mul_hi_u32 s21, s3, s7
	s_mul_i32 s7, s3, s7
	s_add_u32 s9, s9, s22
	s_addc_u32 s20, 0, s20
	s_mul_hi_u32 s23, s3, s8
	s_add_u32 s7, s9, s7
	s_mul_i32 s8, s3, s8
	s_addc_u32 s7, s20, s21
	s_addc_u32 s9, s23, 0
	s_add_u32 s7, s7, s8
	v_add_co_u32 v0, s2, s2, s7
	s_addc_u32 s7, 0, s9
	s_cmp_lg_u32 s2, 0
	s_addc_u32 s2, s3, s7
	v_readfirstlane_b32 s3, v0
	s_mul_i32 s8, s0, s2
	s_mul_hi_u32 s7, s0, s2
	s_mul_hi_u32 s9, s1, s2
	s_mul_i32 s2, s1, s2
	s_mul_hi_u32 s20, s0, s3
	s_mul_hi_u32 s21, s1, s3
	s_mul_i32 s3, s1, s3
	s_add_u32 s8, s20, s8
	s_addc_u32 s7, 0, s7
	s_add_u32 s3, s8, s3
	s_addc_u32 s3, s7, s21
	s_addc_u32 s7, s9, 0
	s_add_u32 s2, s3, s2
	s_addc_u32 s3, 0, s7
	s_mul_i32 s8, s2, 7
	s_add_u32 s7, s2, 1
	v_sub_co_u32 v0, s0, s0, s8
	s_mul_hi_u32 s8, s2, 7
	s_addc_u32 s9, s3, 0
	s_mul_i32 s20, s3, 7
	v_sub_co_u32 v1, s21, v0, 7
	s_add_u32 s22, s2, 2
	s_addc_u32 s23, s3, 0
	s_add_i32 s8, s8, s20
	s_cmp_lg_u32 s0, 0
	v_readfirstlane_b32 s0, v1
	s_subb_u32 s1, s1, s8
	s_cmp_lg_u32 s21, 0
	s_subb_u32 s8, s1, 0
	s_cmp_gt_u32 s0, 6
	s_cselect_b32 s0, -1, 0
	s_cmp_eq_u32 s8, 0
	v_readfirstlane_b32 s8, v0
	s_cselect_b32 s0, s0, -1
	s_cmp_lg_u32 s0, 0
	s_cselect_b32 s0, s22, s7
	s_cselect_b32 s9, s23, s9
	s_cmp_gt_u32 s8, 6
	s_cselect_b32 s7, -1, 0
	s_cmp_eq_u32 s1, 0
	s_cselect_b32 s1, s7, -1
	s_mov_b32 s7, 0
	s_cmp_lg_u32 s1, 0
	s_cselect_b32 s0, s0, s2
	s_cselect_b32 s1, s9, s3
	s_add_u32 s28, s0, 1
	s_addc_u32 s29, s1, 0
	v_cmp_lt_u64_e64 s0, s[6:7], s[28:29]
	s_and_b32 vcc_lo, exec_lo, s0
	s_cbranch_vccnz .LBB0_5
; %bb.4:
	v_cvt_f32_u32_e32 v0, s28
	s_sub_i32 s1, 0, s28
	s_mov_b32 s25, s7
	v_rcp_iflag_f32_e32 v0, v0
	v_mul_f32_e32 v0, 0x4f7ffffe, v0
	v_cvt_u32_f32_e32 v0, v0
	v_readfirstlane_b32 s0, v0
	s_mul_i32 s1, s1, s0
	s_mul_hi_u32 s1, s0, s1
	s_add_i32 s0, s0, s1
	s_mul_hi_u32 s0, s6, s0
	s_mul_i32 s1, s0, s28
	s_add_i32 s2, s0, 1
	s_sub_i32 s1, s6, s1
	s_sub_i32 s3, s1, s28
	s_cmp_ge_u32 s1, s28
	s_cselect_b32 s0, s2, s0
	s_cselect_b32 s1, s3, s1
	s_add_i32 s2, s0, 1
	s_cmp_ge_u32 s1, s28
	s_cselect_b32 s24, s2, s0
.LBB0_5:
	s_load_dwordx4 s[20:23], s[14:15], 0x0
	s_load_dwordx4 s[0:3], s[62:63], 0x0
	s_mul_i32 s8, s24, s29
	s_mul_hi_u32 s9, s24, s28
	s_waitcnt lgkmcnt(0)
	s_mul_i32 s21, s24, s28
	s_add_i32 s9, s9, s8
	s_sub_u32 s33, s6, s21
	s_subb_u32 s8, 0, s9
	v_cmp_lt_u64_e64 s30, s[10:11], 3
	s_mul_hi_u32 s21, s33, 7
	s_mul_i32 s8, s8, 7
	s_mul_i32 s33, s33, 7
	s_add_i32 s21, s21, s8
	s_and_b32 vcc_lo, exec_lo, s30
	s_mul_i32 s8, s22, s21
	s_mul_hi_u32 s9, s22, s33
	s_mul_i32 s31, s2, s21
	s_mul_hi_u32 s34, s2, s33
	s_mul_i32 s30, s23, s33
	s_mul_i32 s35, s3, s33
	s_add_i32 s8, s9, s8
	s_add_i32 s9, s34, s31
	s_mul_i32 s23, s22, s33
	s_add_i32 s44, s8, s30
	s_add_i32 s9, s9, s35
	s_mul_i32 s8, s2, s33
	s_cbranch_vccnz .LBB0_15
; %bb.6:
	s_add_u32 s30, s62, 16
	s_addc_u32 s31, s63, 0
	s_add_u32 s34, s14, 16
	s_addc_u32 s35, s15, 0
	;; [unrolled: 2-line block ×3, first 2 shown]
	s_mov_b64 s[36:37], 2
	s_mov_b32 s38, 0
.LBB0_7:                                ; =>This Inner Loop Header: Depth=1
	s_load_dwordx2 s[40:41], s[12:13], 0x0
	s_waitcnt lgkmcnt(0)
	s_or_b64 s[42:43], s[24:25], s[40:41]
	s_mov_b32 s39, s43
                                        ; implicit-def: $sgpr42_sgpr43
	s_cmp_lg_u64 s[38:39], 0
	s_mov_b32 s39, -1
	s_cbranch_scc0 .LBB0_9
; %bb.8:                                ;   in Loop: Header=BB0_7 Depth=1
	v_cvt_f32_u32_e32 v0, s40
	v_cvt_f32_u32_e32 v1, s41
	s_sub_u32 s43, 0, s40
	s_subb_u32 s45, 0, s41
	v_fmac_f32_e32 v0, 0x4f800000, v1
	v_rcp_f32_e32 v0, v0
	v_mul_f32_e32 v0, 0x5f7ffffc, v0
	v_mul_f32_e32 v1, 0x2f800000, v0
	v_trunc_f32_e32 v1, v1
	v_fmac_f32_e32 v0, 0xcf800000, v1
	v_cvt_u32_f32_e32 v1, v1
	v_cvt_u32_f32_e32 v0, v0
	v_readfirstlane_b32 s39, v1
	v_readfirstlane_b32 s42, v0
	s_mul_i32 s46, s43, s39
	s_mul_hi_u32 s48, s43, s42
	s_mul_i32 s47, s45, s42
	s_add_i32 s46, s48, s46
	s_mul_i32 s49, s43, s42
	s_add_i32 s46, s46, s47
	s_mul_hi_u32 s48, s42, s49
	s_mul_hi_u32 s50, s39, s49
	s_mul_i32 s47, s39, s49
	s_mul_hi_u32 s49, s42, s46
	s_mul_i32 s42, s42, s46
	s_mul_hi_u32 s51, s39, s46
	s_add_u32 s42, s48, s42
	s_addc_u32 s48, 0, s49
	s_add_u32 s42, s42, s47
	s_mul_i32 s46, s39, s46
	s_addc_u32 s42, s48, s50
	s_addc_u32 s47, s51, 0
	s_add_u32 s42, s42, s46
	s_addc_u32 s46, 0, s47
	v_add_co_u32 v0, s42, v0, s42
	s_cmp_lg_u32 s42, 0
	s_addc_u32 s39, s39, s46
	v_readfirstlane_b32 s42, v0
	s_mul_i32 s46, s43, s39
	s_mul_hi_u32 s47, s43, s42
	s_mul_i32 s45, s45, s42
	s_add_i32 s46, s47, s46
	s_mul_i32 s43, s43, s42
	s_add_i32 s46, s46, s45
	s_mul_hi_u32 s47, s39, s43
	s_mul_i32 s48, s39, s43
	s_mul_hi_u32 s43, s42, s43
	s_mul_hi_u32 s49, s42, s46
	s_mul_i32 s42, s42, s46
	s_mul_hi_u32 s45, s39, s46
	s_add_u32 s42, s43, s42
	s_addc_u32 s43, 0, s49
	s_add_u32 s42, s42, s48
	s_mul_i32 s46, s39, s46
	s_addc_u32 s42, s43, s47
	s_addc_u32 s43, s45, 0
	s_add_u32 s42, s42, s46
	s_addc_u32 s43, 0, s43
	v_add_co_u32 v0, s42, v0, s42
	s_cmp_lg_u32 s42, 0
	s_addc_u32 s39, s39, s43
	v_readfirstlane_b32 s42, v0
	s_mul_i32 s45, s24, s39
	s_mul_hi_u32 s43, s24, s39
	s_mul_hi_u32 s46, s25, s39
	s_mul_i32 s39, s25, s39
	s_mul_hi_u32 s47, s24, s42
	s_mul_hi_u32 s48, s25, s42
	s_mul_i32 s42, s25, s42
	s_add_u32 s45, s47, s45
	s_addc_u32 s43, 0, s43
	s_add_u32 s42, s45, s42
	s_addc_u32 s42, s43, s48
	s_addc_u32 s43, s46, 0
	s_add_u32 s42, s42, s39
	s_addc_u32 s43, 0, s43
	s_mul_hi_u32 s39, s40, s42
	s_mul_i32 s46, s40, s43
	s_mul_i32 s47, s40, s42
	s_add_i32 s39, s39, s46
	v_sub_co_u32 v0, s46, s24, s47
	s_mul_i32 s45, s41, s42
	s_add_i32 s39, s39, s45
	v_sub_co_u32 v1, s47, v0, s40
	s_sub_i32 s45, s25, s39
	s_cmp_lg_u32 s46, 0
	s_subb_u32 s45, s45, s41
	s_cmp_lg_u32 s47, 0
	v_readfirstlane_b32 s47, v1
	s_subb_u32 s45, s45, 0
	s_cmp_ge_u32 s45, s41
	s_cselect_b32 s48, -1, 0
	s_cmp_ge_u32 s47, s40
	s_cselect_b32 s47, -1, 0
	s_cmp_eq_u32 s45, s41
	s_cselect_b32 s45, s47, s48
	s_add_u32 s47, s42, 1
	s_addc_u32 s48, s43, 0
	s_add_u32 s49, s42, 2
	s_addc_u32 s50, s43, 0
	s_cmp_lg_u32 s45, 0
	s_cselect_b32 s45, s49, s47
	s_cselect_b32 s47, s50, s48
	s_cmp_lg_u32 s46, 0
	v_readfirstlane_b32 s46, v0
	s_subb_u32 s39, s25, s39
	s_cmp_ge_u32 s39, s41
	s_cselect_b32 s48, -1, 0
	s_cmp_ge_u32 s46, s40
	s_cselect_b32 s46, -1, 0
	s_cmp_eq_u32 s39, s41
	s_cselect_b32 s39, s46, s48
	s_cmp_lg_u32 s39, 0
	s_mov_b32 s39, 0
	s_cselect_b32 s43, s47, s43
	s_cselect_b32 s42, s45, s42
.LBB0_9:                                ;   in Loop: Header=BB0_7 Depth=1
	s_andn2_b32 vcc_lo, exec_lo, s39
	s_cbranch_vccnz .LBB0_11
; %bb.10:                               ;   in Loop: Header=BB0_7 Depth=1
	v_cvt_f32_u32_e32 v0, s40
	s_sub_i32 s42, 0, s40
	v_rcp_iflag_f32_e32 v0, v0
	v_mul_f32_e32 v0, 0x4f7ffffe, v0
	v_cvt_u32_f32_e32 v0, v0
	v_readfirstlane_b32 s39, v0
	s_mul_i32 s42, s42, s39
	s_mul_hi_u32 s42, s39, s42
	s_add_i32 s39, s39, s42
	s_mul_hi_u32 s39, s24, s39
	s_mul_i32 s42, s39, s40
	s_add_i32 s43, s39, 1
	s_sub_i32 s42, s24, s42
	s_sub_i32 s45, s42, s40
	s_cmp_ge_u32 s42, s40
	s_cselect_b32 s39, s43, s39
	s_cselect_b32 s42, s45, s42
	s_add_i32 s43, s39, 1
	s_cmp_ge_u32 s42, s40
	s_cselect_b32 s42, s43, s39
	s_mov_b32 s43, s38
.LBB0_11:                               ;   in Loop: Header=BB0_7 Depth=1
	s_load_dwordx2 s[46:47], s[34:35], 0x0
	s_load_dwordx2 s[48:49], s[30:31], 0x0
	s_mul_i32 s29, s40, s29
	s_mul_hi_u32 s39, s40, s28
	s_mul_i32 s45, s41, s28
	s_mul_i32 s41, s42, s41
	s_mul_hi_u32 s50, s42, s40
	s_mul_i32 s51, s43, s40
	s_add_i32 s29, s39, s29
	s_add_i32 s39, s50, s41
	s_mul_i32 s52, s42, s40
	s_add_i32 s29, s29, s45
	s_add_i32 s39, s39, s51
	s_sub_u32 s24, s24, s52
	s_subb_u32 s25, s25, s39
	s_mul_i32 s28, s40, s28
	s_waitcnt lgkmcnt(0)
	s_mul_i32 s39, s46, s25
	s_mul_hi_u32 s41, s46, s24
	s_mul_i32 s45, s47, s24
	s_add_i32 s39, s41, s39
	s_mul_i32 s46, s46, s24
	s_mul_i32 s25, s48, s25
	s_mul_hi_u32 s41, s48, s24
	s_add_i32 s39, s39, s45
	s_add_u32 s23, s46, s23
	s_addc_u32 s44, s39, s44
	s_add_i32 s25, s41, s25
	s_mul_i32 s39, s49, s24
	s_mul_i32 s24, s48, s24
	s_add_i32 s25, s25, s39
	s_add_u32 s8, s24, s8
	s_addc_u32 s9, s25, s9
	s_add_u32 s36, s36, 1
	s_addc_u32 s37, s37, 0
	s_add_u32 s30, s30, 8
	v_cmp_ge_u64_e64 s24, s[36:37], s[10:11]
	s_addc_u32 s31, s31, 0
	s_add_u32 s34, s34, 8
	s_addc_u32 s35, s35, 0
	s_add_u32 s12, s12, 8
	s_addc_u32 s13, s13, 0
	s_and_b32 vcc_lo, exec_lo, s24
	s_cbranch_vccnz .LBB0_13
; %bb.12:                               ;   in Loop: Header=BB0_7 Depth=1
	s_mov_b64 s[24:25], s[42:43]
	s_branch .LBB0_7
.LBB0_13:
	v_cmp_lt_u64_e64 s7, s[6:7], s[28:29]
	s_mov_b64 s[24:25], 0
	s_and_b32 vcc_lo, exec_lo, s7
	s_cbranch_vccnz .LBB0_15
; %bb.14:
	v_cvt_f32_u32_e32 v0, s28
	s_sub_i32 s12, 0, s28
	v_rcp_iflag_f32_e32 v0, v0
	v_mul_f32_e32 v0, 0x4f7ffffe, v0
	v_cvt_u32_f32_e32 v0, v0
	v_readfirstlane_b32 s7, v0
	s_mul_i32 s12, s12, s7
	s_mul_hi_u32 s12, s7, s12
	s_add_i32 s7, s7, s12
	s_mul_hi_u32 s7, s6, s7
	s_mul_i32 s12, s7, s28
	s_sub_i32 s6, s6, s12
	s_add_i32 s12, s7, 1
	s_sub_i32 s13, s6, s28
	s_cmp_ge_u32 s6, s28
	s_cselect_b32 s7, s12, s7
	s_cselect_b32 s6, s13, s6
	s_add_i32 s12, s7, 1
	s_cmp_ge_u32 s6, s28
	s_cselect_b32 s24, s12, s7
.LBB0_15:
	s_lshl_b64 s[64:65], s[10:11], 3
	v_mul_hi_u32 v114, 0x24924925, v255
	s_add_u32 s6, s14, s64
	s_addc_u32 s7, s15, s65
	s_mov_b32 s44, 0x5d8e7cdc
	s_load_dword s6, s[6:7], 0x0
	s_mov_b32 s40, 0x2a9d6da3
	s_mov_b32 s36, 0x7c9e640b
	;; [unrolled: 1-line block ×3, first 2 shown]
	v_mul_u32_u24_e32 v0, 7, v114
	v_add_nc_u32_e32 v1, 17, v114
	v_add_nc_u32_e32 v9, 34, v114
	;; [unrolled: 1-line block ×4, first 2 shown]
	v_sub_nc_u32_e32 v251, v255, v0
	v_mul_lo_u32 v0, s20, v114
	v_mul_lo_u32 v1, s20, v1
	v_add_nc_u32_e32 v21, 0x55, v114
	v_add_nc_u32_e32 v23, 0x88, v114
	v_add_co_u32 v69, s7, s33, v251
	v_add_co_ci_u32_e64 v70, null, s21, 0, s7
	v_mul_lo_u32 v25, s22, v251
	v_add_nc_u32_e32 v24, 0x99, v114
	s_waitcnt lgkmcnt(0)
	s_mul_i32 s6, s6, s24
	v_cmp_gt_u64_e32 vcc_lo, s[4:5], v[69:70]
	s_add_i32 s10, s6, s23
	s_add_u32 s6, s33, 7
	s_addc_u32 s7, s21, 0
	s_lshl_b32 s10, s10, 4
	v_cmp_le_u64_e64 s5, s[6:7], s[4:5]
	v_add_lshl_u32 v0, v25, v0, 4
	v_add_lshl_u32 v1, v25, v1, 4
	s_mov_b32 s7, 0x31014000
	s_mov_b32 s6, -2
	s_mov_b32 s4, s16
	s_or_b32 vcc_lo, s5, vcc_lo
	s_mov_b32 s5, s17
	v_cndmask_b32_e32 v0, -1, v0, vcc_lo
	v_cndmask_b32_e32 v5, -1, v1, vcc_lo
	v_mul_lo_u32 v23, s20, v23
	v_mul_lo_u32 v24, s20, v24
	v_add_nc_u32_e32 v22, 0x77, v114
	s_clause 0x1
	buffer_load_dwordx4 v[1:4], v0, s[4:7], s10 offen
	buffer_load_dwordx4 v[5:8], v5, s[4:7], s10 offen
	v_mul_lo_u32 v0, s20, v9
	v_add_nc_u32_e32 v27, 0xaa, v114
	v_add_nc_u32_e32 v28, 0xbb, v114
	v_mul_lo_u32 v22, s20, v22
	v_add_lshl_u32 v23, v25, v23, 4
	v_add_lshl_u32 v24, v25, v24, 4
	v_add_nc_u32_e32 v29, 0xdd, v114
	v_add_nc_u32_e32 v30, 0xee, v114
	v_add_lshl_u32 v0, v25, v0, 4
	v_cndmask_b32_e32 v23, -1, v23, vcc_lo
	v_cndmask_b32_e32 v24, -1, v24, vcc_lo
	v_add_lshl_u32 v22, v25, v22, 4
	v_add_nc_u32_e32 v32, 0x110, v114
	v_cndmask_b32_e32 v0, -1, v0, vcc_lo
	v_add_nc_u32_e32 v31, 0xff, v114
	s_mov_b32 s16, 0x923c349f
	v_cndmask_b32_e32 v22, -1, v22, vcc_lo
	s_mov_b32 s12, 0x6c9a05f6
	buffer_load_dwordx4 v[9:12], v0, s[4:7], s10 offen
	v_mul_lo_u32 v0, s20, v13
	s_mov_b32 s45, 0xbfd71e95
	s_mov_b32 s41, 0xbfe58eea
	;; [unrolled: 1-line block ×7, first 2 shown]
	v_add_lshl_u32 v0, v25, v0, 4
	s_mov_b32 s22, 0x2b2883cd
	s_mov_b32 s34, 0x3259b75e
	;; [unrolled: 1-line block ×4, first 2 shown]
	v_cndmask_b32_e32 v0, -1, v0, vcc_lo
	s_mov_b32 s14, 0x7faef3
	s_mov_b32 s43, 0x3fe7a5f6
	;; [unrolled: 1-line block ×4, first 2 shown]
	buffer_load_dwordx4 v[13:16], v0, s[4:7], s10 offen
	v_mul_lo_u32 v0, s20, v17
	s_mov_b32 s39, 0xbfd183b1
	s_mov_b32 s31, 0xbfe348c8
	;; [unrolled: 1-line block ×7, first 2 shown]
	v_add_lshl_u32 v0, v25, v0, 4
	s_mov_b32 s52, s36
	s_mov_b32 s55, 0x3fc7851a
	;; [unrolled: 1-line block ×4, first 2 shown]
	v_cndmask_b32_e32 v0, -1, v0, vcc_lo
	s_mov_b32 s47, 0x3fd71e95
	s_mov_b32 s46, s44
	;; [unrolled: 1-line block ×4, first 2 shown]
	buffer_load_dwordx4 v[17:20], v0, s[4:7], s10 offen
	v_mul_lo_u32 v0, s20, v21
	v_add_nc_u32_e32 v21, 0x66, v114
	s_mov_b32 s59, 0x3fe9895b
	s_mov_b32 s58, s12
	v_mul_lo_u32 v21, s20, v21
	v_add_lshl_u32 v26, v25, v0, 4
	v_add_nc_u32_e32 v0, 0xcc, v114
	v_cndmask_b32_e32 v26, -1, v26, vcc_lo
	v_add_lshl_u32 v21, v25, v21, 4
	v_mul_lo_u32 v0, s20, v0
	buffer_load_dwordx4 v[57:60], v26, s[4:7], s10 offen
	v_cndmask_b32_e32 v21, -1, v21, vcc_lo
	s_clause 0x2
	buffer_load_dwordx4 v[53:56], v23, s[4:7], s10 offen
	buffer_load_dwordx4 v[49:52], v24, s[4:7], s10 offen
	;; [unrolled: 1-line block ×3, first 2 shown]
	v_mul_lo_u32 v26, s20, v27
	v_mul_lo_u32 v27, s20, v28
	;; [unrolled: 1-line block ×5, first 2 shown]
	v_add_lshl_u32 v0, v25, v0, 4
	v_add_lshl_u32 v26, v25, v26, 4
	;; [unrolled: 1-line block ×3, first 2 shown]
	v_cndmask_b32_e32 v0, -1, v0, vcc_lo
	v_add_lshl_u32 v21, v25, v30, 4
	v_cndmask_b32_e32 v26, -1, v26, vcc_lo
	s_clause 0x1
	buffer_load_dwordx4 v[61:64], v22, s[4:7], s10 offen
	buffer_load_dwordx4 v[45:48], v26, s[4:7], s10 offen
	v_cndmask_b32_e32 v23, -1, v27, vcc_lo
	v_add_lshl_u32 v22, v25, v28, 4
	v_cndmask_b32_e32 v21, -1, v21, vcc_lo
	v_mul_lo_u32 v26, s20, v31
	s_mov_b32 s20, 0x910ea3b9
	buffer_load_dwordx4 v[41:44], v23, s[4:7], s10 offen
	v_cndmask_b32_e32 v27, -1, v22, vcc_lo
	s_clause 0x1
	buffer_load_dwordx4 v[21:24], v21, s[4:7], s10 offen
	buffer_load_dwordx4 v[37:40], v0, s[4:7], s10 offen
	v_add_lshl_u32 v0, v25, v29, 4
	s_mov_b32 s21, 0xbfeb34fa
	v_add_lshl_u32 v25, v25, v26, 4
	buffer_load_dwordx4 v[33:36], v27, s[4:7], s10 offen
	v_cndmask_b32_e32 v0, -1, v0, vcc_lo
	v_cndmask_b32_e32 v25, -1, v25, vcc_lo
	s_clause 0x1
	buffer_load_dwordx4 v[29:32], v0, s[4:7], s10 offen
	buffer_load_dwordx4 v[25:28], v25, s[4:7], s10 offen
	s_mov_b32 s6, 0x4363dd80
	s_mov_b32 s4, 0xacd6c6b4
	;; [unrolled: 1-line block ×8, first 2 shown]
	v_mul_u32_u24_e32 v0, 0x770, v114
	s_waitcnt vmcnt(15)
	v_add_f64 v[70:71], v[1:2], v[5:6]
	v_add_f64 v[72:73], v[3:4], v[7:8]
	s_waitcnt vmcnt(14)
	v_add_f64 v[70:71], v[70:71], v[9:10]
	v_add_f64 v[72:73], v[72:73], v[11:12]
	;; [unrolled: 3-line block ×4, first 2 shown]
	s_waitcnt vmcnt(9)
	v_add_f64 v[78:79], v[53:54], -v[49:50]
	v_add_f64 v[80:81], v[55:56], -v[51:52]
	v_add_f64 v[70:71], v[70:71], v[57:58]
	v_add_f64 v[74:75], v[72:73], v[59:60]
	;; [unrolled: 1-line block ×3, first 2 shown]
	s_waitcnt vmcnt(6)
	v_add_f64 v[76:77], v[63:64], v[47:48]
	v_add_f64 v[88:89], v[63:64], -v[47:48]
	v_add_f64 v[86:87], v[61:62], -v[45:46]
	s_waitcnt vmcnt(5)
	v_add_f64 v[82:83], v[65:66], v[41:42]
	s_waitcnt vmcnt(4)
	v_add_f64 v[104:105], v[7:8], -v[23:24]
	v_add_f64 v[106:107], v[5:6], -v[21:22]
	v_add_f64 v[123:124], v[5:6], v[21:22]
	v_add_f64 v[125:126], v[7:8], v[23:24]
	;; [unrolled: 1-line block ×6, first 2 shown]
	v_add_f64 v[90:91], v[65:66], -v[41:42]
	v_add_f64 v[92:93], v[67:68], -v[43:44]
	s_waitcnt vmcnt(3)
	v_add_f64 v[65:66], v[57:58], v[37:38]
	v_add_f64 v[67:68], v[59:60], v[39:40]
	v_add_f64 v[94:95], v[57:58], -v[37:38]
	v_add_f64 v[96:97], v[59:60], -v[39:40]
	s_waitcnt vmcnt(0)
	v_add_f64 v[119:120], v[11:12], -v[27:28]
	v_add_f64 v[121:122], v[9:10], -v[25:26]
	v_add_f64 v[57:58], v[17:18], v[33:34]
	v_add_f64 v[59:60], v[19:20], v[35:36]
	v_add_f64 v[98:99], v[17:18], -v[33:34]
	v_add_f64 v[17:18], v[13:14], v[29:30]
	v_add_f64 v[13:14], v[13:14], -v[29:30]
	v_add_f64 v[115:116], v[9:10], v[25:26]
	v_mul_f64 v[127:128], v[104:105], s[44:45]
	v_mul_f64 v[129:130], v[104:105], s[40:41]
	;; [unrolled: 1-line block ×5, first 2 shown]
	v_add_f64 v[100:101], v[100:101], v[61:62]
	v_add_f64 v[63:64], v[102:103], v[63:64]
	v_mul_f64 v[137:138], v[104:105], s[12:13]
	v_mul_f64 v[139:140], v[104:105], s[6:7]
	;; [unrolled: 1-line block ×6, first 2 shown]
	v_add_f64 v[61:62], v[19:20], -v[35:36]
	v_add_f64 v[19:20], v[15:16], v[31:32]
	v_add_f64 v[15:16], v[15:16], -v[31:32]
	v_add_f64 v[117:118], v[11:12], v[27:28]
	v_mul_f64 v[147:148], v[106:107], s[36:37]
	v_mul_f64 v[151:152], v[106:107], s[16:17]
	;; [unrolled: 1-line block ×10, first 2 shown]
	v_add_f64 v[5:6], v[100:101], v[53:54]
	v_add_f64 v[7:8], v[63:64], v[55:56]
	v_mul_f64 v[199:200], v[119:120], s[48:49]
	v_fma_f64 v[211:212], v[123:124], s[10:11], -v[127:128]
	v_fma_f64 v[127:128], v[123:124], s[10:11], v[127:128]
	v_fma_f64 v[213:214], v[123:124], s[42:43], -v[129:130]
	v_fma_f64 v[129:130], v[123:124], s[42:43], v[129:130]
	;; [unrolled: 2-line block ×4, first 2 shown]
	v_fma_f64 v[219:220], v[123:124], s[38:39], -v[135:136]
	v_fma_f64 v[221:222], v[123:124], s[14:15], -v[141:142]
	v_fma_f64 v[223:224], v[125:126], s[42:43], v[145:146]
	v_fma_f64 v[145:146], v[125:126], s[42:43], -v[145:146]
	v_fma_f64 v[227:228], v[125:126], s[34:35], v[149:150]
	v_fma_f64 v[149:150], v[125:126], s[34:35], -v[149:150]
	v_mul_f64 v[163:164], v[15:16], s[36:37]
	v_mul_f64 v[165:166], v[13:14], s[36:37]
	;; [unrolled: 1-line block ×5, first 2 shown]
	v_add_f64 v[171:172], v[5:6], v[49:50]
	v_add_f64 v[173:174], v[7:8], v[51:52]
	v_mul_f64 v[203:204], v[119:120], s[50:51]
	v_mul_f64 v[205:206], v[121:122], s[50:51]
	;; [unrolled: 1-line block ×3, first 2 shown]
	v_fma_f64 v[225:226], v[125:126], s[22:23], v[147:148]
	v_fma_f64 v[147:148], v[125:126], s[22:23], -v[147:148]
	v_fma_f64 v[229:230], v[125:126], s[38:39], v[151:152]
	v_fma_f64 v[151:152], v[125:126], s[38:39], -v[151:152]
	;; [unrolled: 2-line block ×3, first 2 shown]
	v_fma_f64 v[233:234], v[125:126], s[20:21], v[155:156]
	v_fma_f64 v[237:238], v[117:118], s[34:35], v[177:178]
	v_fma_f64 v[177:178], v[117:118], s[34:35], -v[177:178]
	v_fma_f64 v[239:240], v[115:116], s[30:31], -v[187:188]
	v_fma_f64 v[245:246], v[117:118], s[14:15], v[197:198]
	v_fma_f64 v[197:198], v[117:118], s[14:15], -v[197:198]
	v_fma_f64 v[247:248], v[115:116], s[20:21], -v[199:200]
	v_add_f64 v[211:212], v[1:2], v[211:212]
	v_add_f64 v[127:128], v[1:2], v[127:128]
	;; [unrolled: 1-line block ×6, first 2 shown]
	v_mul_f64 v[173:174], v[119:120], s[4:5]
	v_add_f64 v[149:150], v[3:4], v[149:150]
	v_add_f64 v[219:220], v[1:2], v[219:220]
	v_mul_f64 v[179:180], v[15:16], s[12:13]
	v_mul_f64 v[191:192], v[15:16], s[54:55]
	;; [unrolled: 1-line block ×3, first 2 shown]
	v_fma_f64 v[235:236], v[115:116], s[34:35], -v[175:176]
	v_fma_f64 v[175:176], v[115:116], s[34:35], v[175:176]
	v_fma_f64 v[241:242], v[117:118], s[30:31], v[189:190]
	;; [unrolled: 1-line block ×3, first 2 shown]
	v_fma_f64 v[189:190], v[117:118], s[30:31], -v[189:190]
	v_add_f64 v[213:214], v[1:2], v[213:214]
	v_add_f64 v[223:224], v[3:4], v[223:224]
	v_add_f64 v[129:130], v[1:2], v[129:130]
	v_add_f64 v[225:226], v[3:4], v[225:226]
	v_add_f64 v[131:132], v[1:2], v[131:132]
	v_add_f64 v[147:148], v[3:4], v[147:148]
	v_add_f64 v[217:218], v[1:2], v[217:218]
	v_add_f64 v[227:228], v[3:4], v[227:228]
	v_add_f64 v[133:134], v[1:2], v[133:134]
	v_add_f64 v[41:42], v[45:46], v[41:42]
	v_add_f64 v[43:44], v[47:48], v[43:44]
	v_fma_f64 v[45:46], v[123:124], s[38:39], v[135:136]
	v_fma_f64 v[47:48], v[123:124], s[30:31], -v[137:138]
	v_fma_f64 v[135:136], v[123:124], s[30:31], v[137:138]
	v_fma_f64 v[137:138], v[123:124], s[20:21], -v[139:140]
	v_fma_f64 v[139:140], v[123:124], s[20:21], v[139:140]
	v_fma_f64 v[123:124], v[123:124], s[14:15], v[141:142]
	;; [unrolled: 1-line block ×3, first 2 shown]
	v_fma_f64 v[143:144], v[125:126], s[10:11], -v[143:144]
	v_fma_f64 v[243:244], v[115:116], s[14:15], -v[173:174]
	v_add_f64 v[229:230], v[3:4], v[229:230]
	v_add_f64 v[151:152], v[3:4], v[151:152]
	;; [unrolled: 1-line block ×7, first 2 shown]
	v_mul_f64 v[177:178], v[15:16], s[50:51]
	v_add_f64 v[215:216], v[239:240], v[215:216]
	v_mul_f64 v[239:240], v[13:14], s[50:51]
	v_add_f64 v[149:150], v[197:198], v[149:150]
	v_add_f64 v[37:38], v[41:42], v[37:38]
	;; [unrolled: 1-line block ×3, first 2 shown]
	v_fma_f64 v[41:42], v[125:126], s[20:21], -v[155:156]
	v_fma_f64 v[43:44], v[125:126], s[14:15], v[157:158]
	v_fma_f64 v[125:126], v[125:126], s[14:15], -v[157:158]
	v_fma_f64 v[155:156], v[115:116], s[42:43], -v[159:160]
	v_fma_f64 v[157:158], v[117:118], s[42:43], v[161:162]
	v_fma_f64 v[159:160], v[115:116], s[42:43], v[159:160]
	v_fma_f64 v[161:162], v[117:118], s[42:43], -v[161:162]
	v_add_f64 v[141:142], v[3:4], v[141:142]
	v_add_f64 v[143:144], v[3:4], v[143:144]
	;; [unrolled: 1-line block ×8, first 2 shown]
	v_fma_f64 v[1:2], v[117:118], s[38:39], v[205:206]
	v_fma_f64 v[197:198], v[17:18], s[22:23], -v[163:164]
	v_add_f64 v[219:220], v[247:248], v[219:220]
	v_fma_f64 v[247:248], v[19:20], s[22:23], v[165:166]
	v_fma_f64 v[163:164], v[17:18], s[22:23], v[163:164]
	v_add_f64 v[33:34], v[37:38], v[33:34]
	v_add_f64 v[35:36], v[39:40], v[35:36]
	v_fma_f64 v[37:38], v[117:118], s[20:21], v[201:202]
	v_fma_f64 v[39:40], v[115:116], s[20:21], v[199:200]
	v_fma_f64 v[199:200], v[117:118], s[20:21], -v[201:202]
	v_fma_f64 v[201:202], v[115:116], s[38:39], -v[203:204]
	v_add_f64 v[41:42], v[3:4], v[41:42]
	v_add_f64 v[43:44], v[3:4], v[43:44]
	;; [unrolled: 1-line block ×3, first 2 shown]
	v_fma_f64 v[3:4], v[115:116], s[38:39], v[203:204]
	v_fma_f64 v[203:204], v[117:118], s[38:39], -v[205:206]
	v_fma_f64 v[205:206], v[115:116], s[22:23], -v[207:208]
	v_add_f64 v[155:156], v[155:156], v[211:212]
	v_add_f64 v[141:142], v[157:158], v[141:142]
	;; [unrolled: 1-line block ×4, first 2 shown]
	v_fma_f64 v[165:166], v[19:20], s[22:23], -v[165:166]
	v_mul_f64 v[167:168], v[61:62], s[28:29]
	v_mul_f64 v[169:170], v[98:99], s[28:29]
	v_add_f64 v[129:130], v[175:176], v[129:130]
	v_add_f64 v[131:132], v[187:188], v[131:132]
	;; [unrolled: 1-line block ×5, first 2 shown]
	v_mul_f64 v[181:182], v[13:14], s[12:13]
	v_mul_f64 v[183:184], v[61:62], s[4:5]
	v_add_f64 v[151:152], v[199:200], v[151:152]
	v_fma_f64 v[199:200], v[17:18], s[30:31], -v[179:180]
	v_add_f64 v[47:48], v[201:202], v[47:48]
	v_mul_f64 v[201:202], v[15:16], s[56:57]
	v_fma_f64 v[179:180], v[17:18], s[30:31], v[179:180]
	v_mul_f64 v[195:196], v[61:62], s[50:51]
	v_add_f64 v[153:154], v[203:204], v[153:154]
	v_fma_f64 v[203:204], v[17:18], s[14:15], -v[191:192]
	v_add_f64 v[137:138], v[205:206], v[137:138]
	v_mul_f64 v[205:206], v[15:16], s[44:45]
	v_add_f64 v[155:156], v[197:198], v[155:156]
	v_fma_f64 v[197:198], v[19:20], s[14:15], v[193:194]
	v_add_f64 v[141:142], v[247:248], v[141:142]
	v_mul_f64 v[247:248], v[13:14], s[44:45]
	v_fma_f64 v[191:192], v[17:18], s[14:15], v[191:192]
	v_fma_f64 v[193:194], v[19:20], s[14:15], -v[193:194]
	v_add_f64 v[127:128], v[163:164], v[127:128]
	v_fma_f64 v[163:164], v[17:18], s[38:39], -v[177:178]
	v_add_f64 v[143:144], v[165:166], v[143:144]
	v_fma_f64 v[165:166], v[19:20], s[38:39], v[239:240]
	v_mul_f64 v[171:172], v[98:99], s[50:51]
	v_add_f64 v[1:2], v[1:2], v[231:232]
	v_mul_f64 v[185:186], v[98:99], s[4:5]
	v_mul_f64 v[209:210], v[121:122], s[52:53]
	;; [unrolled: 1-line block ×4, first 2 shown]
	v_add_f64 v[129:130], v[179:180], v[129:130]
	v_fma_f64 v[179:180], v[17:18], s[42:43], -v[201:202]
	v_fma_f64 v[173:174], v[115:116], s[14:15], v[173:174]
	v_add_f64 v[213:214], v[235:236], v[213:214]
	v_add_f64 v[225:226], v[241:242], v[225:226]
	v_mul_f64 v[241:242], v[61:62], s[46:47]
	v_mul_f64 v[187:188], v[98:99], s[46:47]
	v_add_f64 v[39:40], v[39:40], v[45:46]
	v_fma_f64 v[231:232], v[19:20], s[30:31], v[181:182]
	v_add_f64 v[135:136], v[3:4], v[135:136]
	v_add_f64 v[131:132], v[191:192], v[131:132]
	v_fma_f64 v[191:192], v[17:18], s[10:11], -v[205:206]
	v_add_f64 v[147:148], v[193:194], v[147:148]
	v_fma_f64 v[193:194], v[19:20], s[10:11], v[247:248]
	v_add_f64 v[163:164], v[163:164], v[217:218]
	v_fma_f64 v[217:218], v[57:58], s[34:35], -v[167:168]
	v_add_f64 v[165:166], v[165:166], v[227:228]
	v_fma_f64 v[227:228], v[59:60], s[34:35], v[169:170]
	v_mul_f64 v[3:4], v[13:14], s[56:57]
	v_fma_f64 v[181:182], v[19:20], s[30:31], -v[181:182]
	v_add_f64 v[203:204], v[203:204], v[215:216]
	v_mul_f64 v[215:216], v[61:62], s[36:37]
	v_fma_f64 v[201:202], v[17:18], s[42:43], v[201:202]
	v_fma_f64 v[167:168], v[57:58], s[34:35], v[167:168]
	v_fma_f64 v[169:170], v[59:60], s[34:35], -v[169:170]
	v_add_f64 v[179:180], v[179:180], v[219:220]
	v_fma_f64 v[219:220], v[57:58], s[14:15], -v[183:184]
	v_fma_f64 v[183:184], v[57:58], s[14:15], v[183:184]
	v_mul_f64 v[108:109], v[96:97], s[16:17]
	v_mul_f64 v[106:107], v[94:95], s[16:17]
	v_mul_f64 v[110:111], v[96:97], s[48:49]
	v_add_f64 v[29:30], v[33:34], v[29:30]
	v_add_f64 v[31:32], v[35:36], v[31:32]
	;; [unrolled: 1-line block ×3, first 2 shown]
	v_fma_f64 v[191:192], v[57:58], s[38:39], -v[195:196]
	v_add_f64 v[1:2], v[193:194], v[1:2]
	v_mul_f64 v[193:194], v[61:62], s[6:7]
	v_add_f64 v[155:156], v[217:218], v[155:156]
	v_fma_f64 v[217:218], v[59:60], s[38:39], v[171:172]
	v_add_f64 v[141:142], v[227:228], v[141:142]
	v_mul_f64 v[227:228], v[98:99], s[6:7]
	v_fma_f64 v[195:196], v[57:58], s[38:39], v[195:196]
	v_fma_f64 v[171:172], v[59:60], s[38:39], -v[171:172]
	v_fma_f64 v[33:34], v[117:118], s[22:23], v[209:210]
	v_fma_f64 v[35:36], v[115:116], s[10:11], -v[119:120]
	v_fma_f64 v[119:120], v[115:116], s[10:11], v[119:120]
	v_fma_f64 v[115:116], v[115:116], s[22:23], v[207:208]
	;; [unrolled: 1-line block ×3, first 2 shown]
	v_fma_f64 v[121:122], v[117:118], s[10:11], -v[121:122]
	v_fma_f64 v[117:118], v[117:118], s[22:23], -v[209:210]
	v_mul_f64 v[209:210], v[96:97], s[56:57]
	v_mul_f64 v[211:212], v[94:95], s[56:57]
	v_add_f64 v[223:224], v[237:238], v[223:224]
	v_add_f64 v[133:134], v[173:174], v[133:134]
	;; [unrolled: 1-line block ×4, first 2 shown]
	v_fma_f64 v[177:178], v[17:18], s[38:39], v[177:178]
	v_fma_f64 v[239:240], v[19:20], s[38:39], -v[239:240]
	v_add_f64 v[145:146], v[181:182], v[145:146]
	v_fma_f64 v[181:182], v[19:20], s[42:43], v[3:4]
	v_add_f64 v[197:198], v[197:198], v[225:226]
	v_mul_f64 v[225:226], v[98:99], s[36:37]
	v_add_f64 v[39:40], v[201:202], v[39:40]
	v_fma_f64 v[201:202], v[59:60], s[14:15], v[185:186]
	v_fma_f64 v[185:186], v[59:60], s[14:15], -v[185:186]
	v_add_f64 v[127:128], v[167:168], v[127:128]
	v_fma_f64 v[167:168], v[57:58], s[10:11], -v[241:242]
	v_add_f64 v[143:144], v[169:170], v[143:144]
	v_fma_f64 v[169:170], v[59:60], s[10:11], v[187:188]
	v_add_f64 v[129:130], v[183:184], v[129:130]
	v_fma_f64 v[183:184], v[57:58], s[22:23], -v[215:216]
	v_add_f64 v[131:132], v[195:196], v[131:132]
	v_fma_f64 v[195:196], v[57:58], s[20:21], -v[193:194]
	v_add_f64 v[147:148], v[171:172], v[147:148]
	v_fma_f64 v[171:172], v[59:60], s[20:21], v[227:228]
	v_mul_f64 v[102:103], v[92:93], s[12:13]
	v_mul_f64 v[112:113], v[94:95], s[48:49]
	;; [unrolled: 1-line block ×4, first 2 shown]
	v_add_f64 v[223:224], v[231:232], v[223:224]
	v_fma_f64 v[3:4], v[19:20], s[42:43], -v[3:4]
	v_add_f64 v[133:134], v[177:178], v[133:134]
	v_mul_f64 v[177:178], v[96:97], s[4:5]
	v_add_f64 v[149:150], v[239:240], v[149:150]
	v_mul_f64 v[239:240], v[94:95], s[4:5]
	v_add_f64 v[37:38], v[181:182], v[37:38]
	v_add_f64 v[199:200], v[219:220], v[199:200]
	v_fma_f64 v[241:242], v[57:58], s[10:11], v[241:242]
	v_fma_f64 v[187:188], v[59:60], s[10:11], -v[187:188]
	v_add_f64 v[145:146], v[185:186], v[145:146]
	v_fma_f64 v[185:186], v[59:60], s[22:23], v[225:226]
	v_add_f64 v[191:192], v[191:192], v[203:204]
	v_fma_f64 v[215:216], v[57:58], s[22:23], v[215:216]
	v_add_f64 v[197:198], v[217:218], v[197:198]
	v_add_f64 v[163:164], v[167:168], v[163:164]
	v_fma_f64 v[167:168], v[65:66], s[38:39], -v[108:109]
	v_add_f64 v[165:166], v[169:170], v[165:166]
	v_fma_f64 v[169:170], v[67:68], s[38:39], v[106:107]
	v_fma_f64 v[106:107], v[67:68], s[38:39], -v[106:107]
	v_add_f64 v[179:180], v[183:184], v[179:180]
	v_fma_f64 v[183:184], v[65:66], s[20:21], -v[110:111]
	v_fma_f64 v[110:111], v[65:66], s[20:21], v[110:111]
	v_add_f64 v[47:48], v[195:196], v[47:48]
	v_fma_f64 v[195:196], v[65:66], s[42:43], -v[209:210]
	v_add_f64 v[1:2], v[171:172], v[1:2]
	v_fma_f64 v[171:172], v[67:68], s[42:43], v[211:212]
	v_add_f64 v[70:71], v[55:56], v[51:52]
	v_mul_f64 v[55:56], v[90:91], s[12:13]
	v_mul_f64 v[49:50], v[78:79], s[4:5]
	;; [unrolled: 1-line block ×5, first 2 shown]
	v_add_f64 v[3:4], v[3:4], v[151:152]
	v_add_f64 v[201:202], v[201:202], v[223:224]
	v_fma_f64 v[225:226], v[59:60], s[22:23], -v[225:226]
	v_add_f64 v[133:134], v[241:242], v[133:134]
	v_mul_f64 v[241:242], v[96:97], s[60:61]
	v_add_f64 v[149:150], v[187:188], v[149:150]
	v_add_f64 v[37:38], v[185:186], v[37:38]
	v_fma_f64 v[185:186], v[67:68], s[20:21], v[112:113]
	v_add_f64 v[39:40], v[215:216], v[39:40]
	v_fma_f64 v[112:113], v[67:68], s[20:21], -v[112:113]
	v_add_f64 v[155:156], v[167:168], v[155:156]
	v_fma_f64 v[209:210], v[65:66], s[42:43], v[209:210]
	v_fma_f64 v[211:212], v[67:68], s[42:43], -v[211:212]
	v_add_f64 v[106:107], v[106:107], v[143:144]
	v_fma_f64 v[143:144], v[65:66], s[22:23], -v[189:190]
	v_add_f64 v[183:184], v[183:184], v[199:200]
	v_fma_f64 v[199:200], v[67:68], s[22:23], v[243:244]
	v_fma_f64 v[243:244], v[67:68], s[22:23], -v[243:244]
	v_add_f64 v[110:111], v[110:111], v[129:130]
	v_fma_f64 v[129:130], v[65:66], s[14:15], -v[177:178]
	v_add_f64 v[191:192], v[195:196], v[191:192]
	v_fma_f64 v[195:196], v[67:68], s[14:15], v[239:240]
	v_add_f64 v[171:172], v[171:172], v[197:198]
	v_mul_f64 v[197:198], v[13:14], s[28:29]
	v_mul_f64 v[249:250], v[13:14], s[6:7]
	v_fma_f64 v[13:14], v[65:66], s[14:15], v[177:178]
	v_fma_f64 v[177:178], v[82:83], s[30:31], -v[102:103]
	v_fma_f64 v[108:109], v[65:66], s[38:39], v[108:109]
	v_mul_f64 v[187:188], v[94:95], s[60:61]
	v_mul_f64 v[11:12], v[88:89], s[52:53]
	;; [unrolled: 1-line block ×8, first 2 shown]
	v_add_f64 v[3:4], v[225:226], v[3:4]
	v_add_f64 v[141:142], v[169:170], v[141:142]
	v_add_f64 v[185:186], v[185:186], v[201:202]
	v_add_f64 v[112:113], v[112:113], v[145:146]
	v_add_f64 v[131:132], v[209:210], v[131:132]
	v_fma_f64 v[209:210], v[67:68], s[14:15], -v[239:240]
	v_add_f64 v[147:148], v[211:212], v[147:148]
	v_fma_f64 v[211:212], v[65:66], s[34:35], -v[241:242]
	v_add_f64 v[143:144], v[143:144], v[163:164]
	v_fma_f64 v[163:164], v[84:85], s[30:31], v[55:56]
	v_add_f64 v[149:150], v[243:244], v[149:150]
	v_add_f64 v[37:38], v[195:196], v[37:38]
	v_fma_f64 v[195:196], v[70:71], s[14:15], v[49:50]
	v_fma_f64 v[55:56], v[84:85], s[30:31], -v[55:56]
	v_add_f64 v[13:14], v[13:14], v[39:40]
	v_fma_f64 v[39:40], v[82:83], s[38:39], -v[104:105]
	v_fma_f64 v[243:244], v[70:71], s[14:15], -v[49:50]
	v_fma_f64 v[49:50], v[84:85], s[38:39], v[51:52]
	v_fma_f64 v[104:105], v[82:83], s[38:39], v[104:105]
	v_fma_f64 v[51:52], v[84:85], s[38:39], -v[51:52]
	v_add_f64 v[155:156], v[177:178], v[155:156]
	v_fma_f64 v[177:178], v[82:83], s[10:11], -v[157:158]
	v_fma_f64 v[157:158], v[82:83], s[10:11], v[157:158]
	v_mul_f64 v[63:64], v[88:89], s[6:7]
	v_add_f64 v[108:109], v[108:109], v[127:128]
	v_fma_f64 v[189:190], v[65:66], s[22:23], v[189:190]
	v_fma_f64 v[102:103], v[82:83], s[30:31], v[102:103]
	v_mul_f64 v[5:6], v[86:87], s[52:53]
	v_add_f64 v[165:166], v[199:200], v[165:166]
	v_fma_f64 v[199:200], v[67:68], s[34:35], v[187:188]
	v_mul_f64 v[100:101], v[86:87], s[6:7]
	v_mul_f64 v[7:8], v[80:81], s[46:47]
	;; [unrolled: 1-line block ×7, first 2 shown]
	v_add_f64 v[3:4], v[209:210], v[3:4]
	v_add_f64 v[47:48], v[211:212], v[47:48]
	v_fma_f64 v[209:210], v[74:75], s[22:23], -v[11:12]
	v_add_f64 v[141:142], v[163:164], v[141:142]
	v_fma_f64 v[163:164], v[84:85], s[10:11], v[159:160]
	v_add_f64 v[55:56], v[55:56], v[106:107]
	v_fma_f64 v[106:107], v[70:71], s[10:11], v[9:10]
	v_fma_f64 v[159:160], v[84:85], s[10:11], -v[159:160]
	v_fma_f64 v[11:12], v[74:75], s[22:23], v[11:12]
	v_add_f64 v[39:40], v[39:40], v[183:184]
	v_fma_f64 v[183:184], v[82:83], s[20:21], -v[245:246]
	v_fma_f64 v[211:212], v[70:71], s[10:11], -v[9:10]
	v_add_f64 v[9:10], v[49:50], v[185:186]
	v_fma_f64 v[49:50], v[84:85], s[20:21], v[173:174]
	v_add_f64 v[104:105], v[104:105], v[110:111]
	v_add_f64 v[51:52], v[51:52], v[112:113]
	v_fma_f64 v[112:113], v[82:83], s[34:35], -v[181:182]
	v_add_f64 v[131:132], v[157:158], v[131:132]
	v_fma_f64 v[157:158], v[84:85], s[34:35], v[151:152]
	v_fma_f64 v[181:182], v[82:83], s[34:35], v[181:182]
	v_mul_f64 v[53:54], v[80:81], s[4:5]
	v_add_f64 v[133:134], v[189:190], v[133:134]
	v_fma_f64 v[189:190], v[74:75], s[20:21], -v[63:64]
	v_fma_f64 v[63:64], v[74:75], s[20:21], v[63:64]
	v_add_f64 v[102:103], v[102:103], v[108:109]
	v_add_f64 v[1:2], v[199:200], v[1:2]
	v_fma_f64 v[199:200], v[76:77], s[22:23], v[5:6]
	v_mul_f64 v[237:238], v[80:81], s[6:7]
	v_mul_f64 v[145:146], v[15:16], s[28:29]
	v_fma_f64 v[239:240], v[76:77], s[20:21], v[100:101]
	v_fma_f64 v[100:101], v[76:77], s[20:21], -v[100:101]
	v_fma_f64 v[108:109], v[72:73], s[10:11], -v[7:8]
	v_fma_f64 v[5:6], v[76:77], s[22:23], -v[5:6]
	v_fma_f64 v[7:8], v[72:73], s[10:11], v[7:8]
	v_fma_f64 v[110:111], v[74:75], s[34:35], -v[161:162]
	v_add_f64 v[177:178], v[177:178], v[191:192]
	v_fma_f64 v[191:192], v[76:77], s[34:35], v[235:236]
	v_add_f64 v[147:148], v[159:160], v[147:148]
	v_add_f64 v[143:144], v[183:184], v[143:144]
	v_fma_f64 v[161:162], v[74:75], s[34:35], v[161:162]
	v_fma_f64 v[235:236], v[76:77], s[34:35], -v[235:236]
	v_add_f64 v[49:50], v[49:50], v[165:166]
	v_fma_f64 v[165:166], v[74:75], s[30:31], -v[229:230]
	v_add_f64 v[37:38], v[157:158], v[37:38]
	;; [unrolled: 2-line block ×3, first 2 shown]
	v_fma_f64 v[181:182], v[76:77], s[10:11], v[223:224]
	v_fma_f64 v[219:220], v[74:75], s[10:11], v[219:220]
	v_add_f64 v[104:105], v[11:12], v[104:105]
	v_add_f64 v[29:30], v[29:30], v[25:26]
	;; [unrolled: 1-line block ×3, first 2 shown]
	v_mul_f64 v[15:16], v[15:16], s[6:7]
	v_add_f64 v[129:130], v[129:130], v[179:180]
	v_fma_f64 v[179:180], v[72:73], s[14:15], -v[53:54]
	v_fma_f64 v[53:54], v[72:73], s[14:15], v[53:54]
	v_add_f64 v[63:64], v[63:64], v[102:103]
	v_add_f64 v[39:40], v[209:210], v[39:40]
	;; [unrolled: 1-line block ×4, first 2 shown]
	v_fma_f64 v[171:172], v[72:73], s[20:21], -v[237:238]
	v_fma_f64 v[205:206], v[17:18], s[10:11], v[205:206]
	v_add_f64 v[110:111], v[110:111], v[177:178]
	v_add_f64 v[100:101], v[100:101], v[55:56]
	v_add_f64 v[177:178], v[5:6], v[51:52]
	v_add_f64 v[51:52], v[161:162], v[131:132]
	v_add_f64 v[131:132], v[235:236], v[147:148]
	v_add_f64 v[55:56], v[165:166], v[143:144]
	v_fma_f64 v[185:186], v[82:83], s[20:21], v[245:246]
	v_add_f64 v[143:144], v[181:182], v[37:38]
	v_add_f64 v[147:148], v[219:220], v[13:14]
	;; [unrolled: 1-line block ×6, first 2 shown]
	v_fma_f64 v[29:30], v[17:18], s[34:35], -v[145:146]
	v_fma_f64 v[31:32], v[19:20], s[34:35], v[197:198]
	v_mul_f64 v[33:34], v[61:62], s[58:59]
	v_mul_f64 v[37:38], v[98:99], s[58:59]
	v_fma_f64 v[245:246], v[19:20], s[10:11], -v[247:248]
	v_add_f64 v[5:6], v[53:54], v[63:64]
	v_add_f64 v[9:10], v[108:109], v[39:40]
	;; [unrolled: 1-line block ×4, first 2 shown]
	v_fma_f64 v[43:44], v[17:18], s[20:21], -v[15:16]
	v_fma_f64 v[53:54], v[19:20], s[20:21], v[249:250]
	v_mul_f64 v[61:62], v[61:62], s[56:57]
	v_mul_f64 v[63:64], v[98:99], s[56:57]
	v_add_f64 v[11:12], v[106:107], v[199:200]
	v_add_f64 v[98:99], v[119:120], v[123:124]
	;; [unrolled: 1-line block ×3, first 2 shown]
	v_fma_f64 v[15:16], v[17:18], s[20:21], v[15:16]
	v_fma_f64 v[106:107], v[19:20], s[20:21], -v[249:250]
	v_add_f64 v[108:109], v[115:116], v[139:140]
	v_add_f64 v[41:42], v[117:118], v[41:42]
	v_fma_f64 v[17:18], v[17:18], s[34:35], v[145:146]
	v_fma_f64 v[19:20], v[19:20], s[34:35], -v[197:198]
	v_add_f64 v[25:26], v[171:172], v[110:111]
	v_add_f64 v[110:111], v[205:206], v[135:136]
	v_fma_f64 v[117:118], v[57:58], s[20:21], v[193:194]
	v_add_f64 v[29:30], v[29:30], v[137:138]
	v_add_f64 v[7:8], v[31:32], v[7:8]
	v_fma_f64 v[31:32], v[57:58], s[30:31], -v[33:34]
	v_fma_f64 v[121:122], v[59:60], s[30:31], v[37:38]
	v_mul_f64 v[123:124], v[96:97], s[44:45]
	v_mul_f64 v[125:126], v[94:95], s[44:45]
	v_add_f64 v[115:116], v[245:246], v[153:154]
	v_fma_f64 v[119:120], v[59:60], s[20:21], -v[227:228]
	v_add_f64 v[35:36], v[43:44], v[35:36]
	v_add_f64 v[39:40], v[53:54], v[39:40]
	v_fma_f64 v[43:44], v[57:58], s[42:43], -v[61:62]
	v_fma_f64 v[53:54], v[59:60], s[42:43], v[63:64]
	v_mul_f64 v[96:97], v[96:97], s[12:13]
	v_mul_f64 v[94:95], v[94:95], s[12:13]
	v_add_f64 v[15:16], v[15:16], v[98:99]
	v_add_f64 v[98:99], v[106:107], v[104:105]
	v_fma_f64 v[61:62], v[57:58], s[42:43], v[61:62]
	v_fma_f64 v[63:64], v[59:60], s[42:43], -v[63:64]
	v_add_f64 v[17:18], v[17:18], v[108:109]
	v_add_f64 v[19:20], v[19:20], v[41:42]
	v_fma_f64 v[33:34], v[57:58], s[30:31], v[33:34]
	v_fma_f64 v[37:38], v[59:60], s[30:31], -v[37:38]
	v_mul_f64 v[215:216], v[92:93], s[40:41]
	v_mul_f64 v[225:226], v[90:91], s[40:41]
	v_fma_f64 v[151:152], v[84:85], s[34:35], -v[151:152]
	v_add_f64 v[41:42], v[117:118], v[110:111]
	v_add_f64 v[29:30], v[31:32], v[29:30]
	;; [unrolled: 1-line block ×3, first 2 shown]
	v_fma_f64 v[31:32], v[65:66], s[10:11], -v[123:124]
	v_fma_f64 v[106:107], v[67:68], s[10:11], v[125:126]
	v_mul_f64 v[108:109], v[92:93], s[4:5]
	v_mul_f64 v[110:111], v[90:91], s[4:5]
	v_add_f64 v[57:58], v[119:120], v[115:116]
	v_fma_f64 v[59:60], v[65:66], s[34:35], v[241:242]
	v_fma_f64 v[104:105], v[67:68], s[34:35], -v[187:188]
	v_add_f64 v[35:36], v[43:44], v[35:36]
	v_add_f64 v[39:40], v[53:54], v[39:40]
	v_fma_f64 v[43:44], v[65:66], s[30:31], -v[96:97]
	v_fma_f64 v[53:54], v[67:68], s[30:31], v[94:95]
	v_mul_f64 v[92:93], v[92:93], s[52:53]
	v_mul_f64 v[90:91], v[90:91], s[52:53]
	v_add_f64 v[15:16], v[61:62], v[15:16]
	v_add_f64 v[61:62], v[63:64], v[98:99]
	v_fma_f64 v[63:64], v[65:66], s[30:31], v[96:97]
	v_fma_f64 v[94:95], v[67:68], s[30:31], -v[94:95]
	v_add_f64 v[17:18], v[33:34], v[17:18]
	v_add_f64 v[19:20], v[37:38], v[19:20]
	v_fma_f64 v[33:34], v[65:66], s[10:11], v[123:124]
	v_fma_f64 v[37:38], v[67:68], s[10:11], -v[125:126]
	v_mul_f64 v[45:46], v[86:87], s[58:59]
	v_mul_f64 v[167:168], v[88:89], s[4:5]
	;; [unrolled: 1-line block ×3, first 2 shown]
	v_fma_f64 v[183:184], v[82:83], s[42:43], -v[215:216]
	v_add_f64 v[3:4], v[151:152], v[3:4]
	v_fma_f64 v[151:152], v[84:85], s[42:43], v[225:226]
	v_add_f64 v[29:30], v[31:32], v[29:30]
	v_add_f64 v[7:8], v[106:107], v[7:8]
	v_fma_f64 v[31:32], v[82:83], s[14:15], -v[108:109]
	v_fma_f64 v[67:68], v[84:85], s[14:15], v[110:111]
	v_mul_f64 v[96:97], v[88:89], s[56:57]
	v_mul_f64 v[98:99], v[86:87], s[56:57]
	v_add_f64 v[41:42], v[59:60], v[41:42]
	v_add_f64 v[57:58], v[104:105], v[57:58]
	v_fma_f64 v[59:60], v[82:83], s[42:43], v[215:216]
	v_fma_f64 v[65:66], v[84:85], s[42:43], -v[225:226]
	v_add_f64 v[35:36], v[43:44], v[35:36]
	v_add_f64 v[39:40], v[53:54], v[39:40]
	v_fma_f64 v[43:44], v[82:83], s[22:23], -v[92:93]
	v_fma_f64 v[53:54], v[84:85], s[22:23], v[90:91]
	v_mul_f64 v[88:89], v[88:89], s[16:17]
	v_mul_f64 v[86:87], v[86:87], s[16:17]
	v_add_f64 v[15:16], v[63:64], v[15:16]
	v_add_f64 v[61:62], v[94:95], v[61:62]
	v_fma_f64 v[63:64], v[82:83], s[22:23], v[92:93]
	v_fma_f64 v[90:91], v[84:85], s[22:23], -v[90:91]
	v_add_f64 v[17:18], v[33:34], v[17:18]
	v_add_f64 v[19:20], v[37:38], v[19:20]
	v_fma_f64 v[33:34], v[82:83], s[14:15], v[108:109]
	v_fma_f64 v[37:38], v[84:85], s[14:15], -v[110:111]
	v_fma_f64 v[173:174], v[84:85], s[20:21], -v[173:174]
	v_mul_f64 v[175:176], v[78:79], s[6:7]
	v_mul_f64 v[213:214], v[80:81], s[56:57]
	;; [unrolled: 1-line block ×3, first 2 shown]
	v_add_f64 v[133:134], v[185:186], v[133:134]
	v_fma_f64 v[185:186], v[76:77], s[30:31], v[45:46]
	v_mul_f64 v[203:204], v[80:81], s[12:13]
	v_mul_f64 v[217:218], v[78:79], s[12:13]
	v_add_f64 v[112:113], v[112:113], v[129:130]
	v_mul_f64 v[127:128], v[80:81], s[52:53]
	v_mul_f64 v[201:202], v[78:79], s[52:53]
	v_add_f64 v[47:48], v[183:184], v[47:48]
	v_add_f64 v[141:142], v[239:240], v[141:142]
	v_fma_f64 v[239:240], v[74:75], s[14:15], -v[167:168]
	v_fma_f64 v[102:103], v[76:77], s[14:15], v[169:170]
	v_add_f64 v[151:152], v[151:152], v[1:2]
	v_add_f64 v[29:30], v[31:32], v[29:30]
	;; [unrolled: 1-line block ×3, first 2 shown]
	v_fma_f64 v[31:32], v[74:75], s[42:43], -v[96:97]
	v_fma_f64 v[67:68], v[76:77], s[42:43], v[98:99]
	v_mul_f64 v[82:83], v[80:81], s[16:17]
	v_mul_f64 v[84:85], v[78:79], s[16:17]
	v_add_f64 v[41:42], v[59:60], v[41:42]
	v_add_f64 v[57:58], v[65:66], v[57:58]
	v_fma_f64 v[59:60], v[74:75], s[14:15], v[167:168]
	v_fma_f64 v[65:66], v[76:77], s[14:15], -v[169:170]
	v_add_f64 v[35:36], v[43:44], v[35:36]
	v_add_f64 v[39:40], v[53:54], v[39:40]
	v_fma_f64 v[43:44], v[74:75], s[38:39], -v[88:89]
	v_fma_f64 v[53:54], v[76:77], s[38:39], v[86:87]
	v_mul_f64 v[80:81], v[80:81], s[60:61]
	v_mul_f64 v[78:79], v[78:79], s[60:61]
	v_add_f64 v[15:16], v[63:64], v[15:16]
	v_add_f64 v[61:62], v[90:91], v[61:62]
	v_fma_f64 v[63:64], v[74:75], s[38:39], v[88:89]
	v_fma_f64 v[86:87], v[76:77], s[38:39], -v[86:87]
	v_add_f64 v[17:18], v[33:34], v[17:18]
	v_add_f64 v[19:20], v[37:38], v[19:20]
	v_fma_f64 v[33:34], v[74:75], s[42:43], v[96:97]
	v_fma_f64 v[37:38], v[76:77], s[42:43], -v[98:99]
	v_fma_f64 v[223:224], v[76:77], s[10:11], -v[223:224]
	v_add_f64 v[149:150], v[173:174], v[149:150]
	v_fma_f64 v[229:230], v[74:75], s[30:31], v[229:230]
	v_fma_f64 v[45:46], v[76:77], s[30:31], -v[45:46]
	v_add_f64 v[155:156], v[189:190], v[155:156]
	v_fma_f64 v[159:160], v[70:71], s[20:21], v[175:176]
	v_add_f64 v[163:164], v[191:192], v[163:164]
	v_fma_f64 v[173:174], v[72:73], s[42:43], -v[213:214]
	v_fma_f64 v[129:130], v[70:71], s[42:43], v[231:232]
	v_add_f64 v[49:50], v[185:186], v[49:50]
	v_fma_f64 v[183:184], v[72:73], s[30:31], -v[203:204]
	v_fma_f64 v[189:190], v[70:71], s[30:31], v[217:218]
	v_add_f64 v[112:113], v[157:158], v[112:113]
	v_add_f64 v[47:48], v[239:240], v[47:48]
	;; [unrolled: 1-line block ×3, first 2 shown]
	v_fma_f64 v[76:77], v[72:73], s[22:23], -v[127:128]
	v_fma_f64 v[88:89], v[70:71], s[22:23], v[201:202]
	v_add_f64 v[92:93], v[31:32], v[29:30]
	v_add_f64 v[7:8], v[67:68], v[7:8]
	v_fma_f64 v[67:68], v[72:73], s[38:39], -v[82:83]
	v_fma_f64 v[94:95], v[70:71], s[38:39], v[84:85]
	v_fma_f64 v[237:238], v[72:73], s[20:21], v[237:238]
	v_add_f64 v[59:60], v[59:60], v[41:42]
	v_add_f64 v[57:58], v[65:66], v[57:58]
	v_fma_f64 v[65:66], v[72:73], s[22:23], v[127:128]
	v_fma_f64 v[90:91], v[70:71], s[22:23], -v[201:202]
	v_add_f64 v[35:36], v[43:44], v[35:36]
	v_add_f64 v[96:97], v[53:54], v[39:40]
	v_fma_f64 v[98:99], v[72:73], s[34:35], -v[80:81]
	v_fma_f64 v[102:103], v[70:71], s[34:35], v[78:79]
	v_add_f64 v[15:16], v[63:64], v[15:16]
	v_add_f64 v[63:64], v[86:87], v[61:62]
	v_fma_f64 v[61:62], v[72:73], s[34:35], v[80:81]
	v_fma_f64 v[78:79], v[70:71], s[34:35], -v[78:79]
	v_fma_f64 v[213:214], v[72:73], s[42:43], v[213:214]
	v_fma_f64 v[203:204], v[72:73], s[30:31], v[203:204]
	v_add_f64 v[80:81], v[33:34], v[17:18]
	v_add_f64 v[19:20], v[37:38], v[19:20]
	v_fma_f64 v[72:73], v[72:73], s[38:39], v[82:83]
	v_fma_f64 v[82:83], v[70:71], s[38:39], -v[84:85]
	v_fma_f64 v[217:218], v[70:71], s[30:31], -v[217:218]
	v_add_f64 v[157:158], v[223:224], v[3:4]
	v_fma_f64 v[175:176], v[70:71], s[20:21], -v[175:176]
	v_add_f64 v[133:134], v[229:230], v[133:134]
	v_add_f64 v[84:85], v[45:46], v[149:150]
	v_fma_f64 v[70:71], v[70:71], s[42:43], -v[231:232]
	v_add_f64 v[1:2], v[179:180], v[155:156]
	v_add_f64 v[3:4], v[195:196], v[141:142]
	;; [unrolled: 1-line block ×22, first 2 shown]
	v_lshlrev_b32_e32 v72, 4, v251
	v_add_f64 v[33:34], v[213:214], v[133:134]
	v_add_f64 v[35:36], v[70:71], v[84:85]
	;; [unrolled: 1-line block ×5, first 2 shown]
	v_add3_u32 v0, 0, v0, v72
	ds_write_b128 v0, v[21:24]
	ds_write_b128 v0, v[1:4] offset:112
	ds_write_b128 v0, v[9:12] offset:224
	;; [unrolled: 1-line block ×16, first 2 shown]
	s_waitcnt lgkmcnt(0)
	s_barrier
	buffer_gl0_inv
	s_and_saveexec_b32 s25, vcc_lo
	s_cbranch_execz .LBB0_17
; %bb.16:
	v_mul_hi_u32 v0, 0xf0f0f10, v114
	s_add_u32 s62, s62, s64
	s_addc_u32 s63, s63, s65
	s_add_i32 s25, 0, 0x7e70
	v_mul_lo_u32 v21, 0xffffffef, v69
	v_mul_u32_u24_e32 v0, 17, v0
	v_sub_nc_u32_e32 v0, v114, v0
	v_mul_lo_u32 v2, v0, v69
	v_add_nc_u32_e32 v1, 0x110, v0
	v_mov_b32_e32 v99, v0
	v_mul_lo_u32 v1, v1, v69
	buffer_store_dword v99, off, s[68:71], 0 offset:96 ; 4-byte Folded Spill
	v_lshrrev_b32_e32 v4, 2, v2
	v_lshrrev_b32_e32 v0, 8, v2
	v_and_b32_e32 v3, 63, v2
	v_and_b32_e32 v4, 0x3f0, v4
	;; [unrolled: 1-line block ×3, first 2 shown]
	v_lshl_add_u32 v3, v3, 4, 0
	v_lshrrev_b32_e32 v5, 2, v1
	v_add_nc_u32_e32 v6, v1, v21
	v_add_nc_u32_e32 v4, s25, v4
	v_add_nc_u32_e32 v0, s25, v0
	v_and_b32_e32 v2, 63, v1
	v_lshrrev_b32_e32 v1, 8, v1
	v_and_b32_e32 v5, 0x3f0, v5
	ds_read_b128 v[13:16], v4 offset:1024
	ds_read_b128 v[17:20], v3 offset:32368
	;; [unrolled: 1-line block ×3, first 2 shown]
	v_lshrrev_b32_e32 v7, 2, v6
	v_and_b32_e32 v8, 63, v6
	v_add_nc_u32_e32 v9, v6, v21
	v_and_b32_e32 v1, 0x3f0, v1
	v_add_nc_u32_e32 v4, s25, v5
	v_lshl_add_u32 v2, v2, 4, 0
	v_lshrrev_b32_e32 v6, 8, v6
	v_and_b32_e32 v7, 0x3f0, v7
	v_lshl_add_u32 v10, v8, 4, 0
	v_lshrrev_b32_e32 v5, 2, v9
	v_and_b32_e32 v8, 63, v9
	v_add_nc_u32_e32 v1, s25, v1
	ds_read_b128 v[22:25], v4 offset:1024
	v_and_b32_e32 v12, 0x3f0, v6
	v_add_nc_u32_e32 v0, s25, v7
	v_and_b32_e32 v3, 0x3f0, v5
	v_lshl_add_u32 v39, v8, 4, 0
	ds_read_b128 v[26:29], v2 offset:32368
	ds_read_b128 v[5:8], v1 offset:2048
	s_waitcnt lgkmcnt(4)
	v_mul_f64 v[55:56], v[19:20], v[15:16]
	v_mul_f64 v[15:16], v[17:18], v[15:16]
	v_add_nc_u32_e32 v11, v9, v21
	v_lshrrev_b32_e32 v9, 8, v9
	ds_read_b128 v[31:34], v10 offset:32368
	ds_read_b128 v[35:38], v0 offset:1024
	v_add_nc_u32_e32 v0, s25, v3
	v_add_nc_u32_e32 v1, s25, v12
	v_and_b32_e32 v4, 63, v11
	v_lshrrev_b32_e32 v30, 2, v11
	v_add_nc_u32_e32 v65, v11, v21
	v_and_b32_e32 v2, 0x3f0, v9
	v_lshrrev_b32_e32 v43, 8, v11
	v_lshl_add_u32 v3, v4, 4, 0
	v_and_b32_e32 v4, 0x3f0, v30
	v_lshrrev_b32_e32 v47, 2, v65
	ds_read_b128 v[39:42], v39 offset:32368
	ds_read_b128 v[9:12], v1 offset:2048
	v_add_nc_u32_e32 v1, s25, v2
	v_add_nc_u32_e32 v4, s25, v4
	s_waitcnt lgkmcnt(5)
	v_mul_f64 v[63:64], v[28:29], v[24:25]
	v_and_b32_e32 v2, 0x3f0, v43
	ds_read_b128 v[43:46], v0 offset:1024
	v_fma_f64 v[17:18], v[17:18], v[13:14], -v[55:56]
	v_fma_f64 v[13:14], v[19:20], v[13:14], v[15:16]
	v_and_b32_e32 v0, 0x3f0, v47
	ds_read_b128 v[47:50], v3 offset:32368
	ds_read_b128 v[51:54], v4 offset:1024
	v_and_b32_e32 v30, 63, v65
	v_add_nc_u32_e32 v66, v65, v21
	v_mul_f64 v[24:25], v[26:27], v[24:25]
	v_add_nc_u32_e32 v0, s25, v0
	v_add_nc_u32_e32 v2, s25, v2
	v_lshl_add_u32 v30, v30, 4, 0
	v_lshrrev_b32_e32 v57, 2, v66
	v_and_b32_e32 v58, 63, v66
	s_waitcnt lgkmcnt(5)
	v_mul_f64 v[67:68], v[33:34], v[37:38]
	v_add_nc_u32_e32 v71, v66, v21
	v_mul_f64 v[37:38], v[31:32], v[37:38]
	v_and_b32_e32 v3, 0x3f0, v57
	v_lshl_add_u32 v4, v58, 4, 0
	buffer_store_dword v17, off, s[68:71], 0 ; 4-byte Folded Spill
	buffer_store_dword v18, off, s[68:71], 0 offset:4 ; 4-byte Folded Spill
	buffer_store_dword v13, off, s[68:71], 0 offset:8 ; 4-byte Folded Spill
	buffer_store_dword v14, off, s[68:71], 0 offset:12 ; 4-byte Folded Spill
	ds_read_b128 v[55:58], v30 offset:32368
	ds_read_b128 v[17:20], v1 offset:2048
	;; [unrolled: 1-line block ×4, first 2 shown]
	s_waitcnt lgkmcnt(6)
	v_mul_f64 v[69:70], v[41:42], v[45:46]
	v_mul_f64 v[45:46], v[39:40], v[45:46]
	v_fma_f64 v[0:1], v[26:27], v[22:23], -v[63:64]
	s_waitcnt lgkmcnt(4)
	v_mul_f64 v[26:27], v[49:50], v[53:54]
	v_mul_f64 v[53:54], v[47:48], v[53:54]
	v_lshrrev_b32_e32 v63, 8, v65
	v_lshrrev_b32_e32 v64, 8, v66
	v_add_nc_u32_e32 v30, s25, v3
	v_fma_f64 v[2:3], v[28:29], v[22:23], v[24:25]
	v_fma_f64 v[105:106], v[31:32], v[35:36], -v[67:68]
	v_and_b32_e32 v28, 0x3f0, v63
	v_and_b32_e32 v29, 0x3f0, v64
	ds_read_b128 v[22:25], v4 offset:32368
	ds_read_b128 v[63:66], v30 offset:1024
	v_lshrrev_b32_e32 v4, 2, v71
	v_and_b32_e32 v30, 63, v71
	v_add_nc_u32_e32 v28, s25, v28
	v_add_nc_u32_e32 v29, s25, v29
	ds_read_b128 v[73:76], v28 offset:2048
	ds_read_b128 v[213:216], v29 offset:2048
	v_and_b32_e32 v4, 0x3f0, v4
	s_waitcnt lgkmcnt(4)
	v_mul_f64 v[67:68], v[57:58], v[61:62]
	v_mul_f64 v[61:62], v[55:56], v[61:62]
	v_lshl_add_u32 v28, v30, 4, 0
	v_add_nc_u32_e32 v29, v71, v21
	v_add_nc_u32_e32 v4, s25, v4
	v_fma_f64 v[117:118], v[39:40], v[43:44], -v[69:70]
	v_fma_f64 v[135:136], v[41:42], v[43:44], v[45:46]
	ds_read_b128 v[41:44], v28 offset:32368
	v_fma_f64 v[177:178], v[47:48], v[51:52], -v[26:27]
	v_fma_f64 v[179:180], v[49:50], v[51:52], v[53:54]
	ds_read_b128 v[49:52], v4 offset:1024
	v_lshrrev_b32_e32 v28, 2, v29
	v_and_b32_e32 v4, 63, v29
	v_fma_f64 v[107:108], v[33:34], v[35:36], v[37:38]
	s_waitcnt lgkmcnt(4)
	v_mul_f64 v[26:27], v[24:25], v[65:66]
	v_mul_f64 v[33:34], v[22:23], v[65:66]
	v_and_b32_e32 v28, 0x3f0, v28
	v_lshl_add_u32 v4, v4, 4, 0
	v_lshrrev_b32_e32 v31, 8, v71
	v_add_nc_u32_e32 v30, v29, v21
	v_lshrrev_b32_e32 v29, 8, v29
	v_add_nc_u32_e32 v28, s25, v28
	v_fma_f64 v[173:174], v[55:56], v[59:60], -v[67:68]
	v_fma_f64 v[175:176], v[57:58], v[59:60], v[61:62]
	ds_read_b128 v[57:60], v4 offset:32368
	ds_read_b128 v[65:68], v28 offset:1024
	v_and_b32_e32 v31, 0x3f0, v31
	v_and_b32_e32 v29, 0x3f0, v29
	v_lshrrev_b32_e32 v4, 2, v30
	v_and_b32_e32 v32, 63, v30
	v_add_nc_u32_e32 v28, v30, v21
	v_add_nc_u32_e32 v31, s25, v31
	;; [unrolled: 1-line block ×3, first 2 shown]
	v_and_b32_e32 v4, 0x3f0, v4
	ds_read_b128 v[53:56], v31 offset:2048
	ds_read_b128 v[91:94], v29 offset:2048
	v_lshl_add_u32 v29, v32, 4, 0
	v_add_nc_u32_e32 v4, s25, v4
	ds_read_b128 v[69:72], v29 offset:32368
	ds_read_b128 v[77:80], v4 offset:1024
	v_lshrrev_b32_e32 v35, 2, v28
	v_and_b32_e32 v31, 63, v28
	s_waitcnt lgkmcnt(4)
	v_mul_f64 v[89:90], v[59:60], v[67:68]
	v_fma_f64 v[195:196], v[22:23], v[63:64], -v[26:27]
	v_fma_f64 v[211:212], v[24:25], v[63:64], v[33:34]
	v_and_b32_e32 v32, 0x3f0, v35
	v_mul_f64 v[67:68], v[57:58], v[67:68]
	v_lshl_add_u32 v4, v31, 4, 0
	v_lshrrev_b32_e32 v30, 8, v30
	v_lshrrev_b32_e32 v31, 8, v28
	v_add_nc_u32_e32 v29, s25, v32
	ds_read_b128 v[81:84], v4 offset:32368
	ds_read_b128 v[85:88], v29 offset:1024
	v_and_b32_e32 v4, 0x3f0, v30
	v_add_nc_u32_e32 v28, v28, v21
	v_and_b32_e32 v29, 0x3f0, v31
	v_mul_f64 v[61:62], v[43:44], v[51:52]
	s_waitcnt lgkmcnt(2)
	v_mul_f64 v[26:27], v[71:72], v[79:80]
	v_add_nc_u32_e32 v4, s25, v4
	v_lshrrev_b32_e32 v22, 2, v28
	v_add_nc_u32_e32 v29, s25, v29
	ds_read_b128 v[95:98], v4 offset:2048
	ds_read_b128 v[229:232], v29 offset:2048
	v_fma_f64 v[23:24], v[57:58], v[65:66], -v[89:90]
	v_and_b32_e32 v4, 0x3f0, v22
	v_and_b32_e32 v22, 63, v28
	v_mul_f64 v[63:64], v[69:70], v[79:80]
	v_mul_f64 v[51:52], v[41:42], v[51:52]
	buffer_store_dword v23, off, s[68:71], 0 offset:232 ; 4-byte Folded Spill
	buffer_store_dword v24, off, s[68:71], 0 offset:236 ; 4-byte Folded Spill
	v_lshl_add_u32 v29, v22, 4, 0
	v_fma_f64 v[22:23], v[59:60], v[65:66], v[67:68]
	v_fma_f64 v[26:27], v[69:70], v[77:78], -v[26:27]
	v_add_nc_u32_e32 v4, s25, v4
	v_fma_f64 v[189:190], v[41:42], v[49:50], -v[61:62]
	s_waitcnt lgkmcnt(2)
	v_mul_f64 v[41:42], v[83:84], v[87:88]
	v_mul_f64 v[61:62], v[81:82], v[87:88]
	v_fma_f64 v[191:192], v[43:44], v[49:50], v[51:52]
	buffer_store_dword v22, off, s[68:71], 0 offset:240 ; 4-byte Folded Spill
	buffer_store_dword v23, off, s[68:71], 0 offset:244 ; 4-byte Folded Spill
	ds_read_b128 v[22:25], v4 offset:1024
	ds_read_b128 v[57:60], v29 offset:32368
	v_add_nc_u32_e32 v4, v28, v21
	v_lshrrev_b32_e32 v28, 8, v28
	buffer_store_dword v26, off, s[68:71], 0 offset:136 ; 4-byte Folded Spill
	buffer_store_dword v27, off, s[68:71], 0 offset:140 ; 4-byte Folded Spill
	v_lshrrev_b32_e32 v29, 8, v4
	v_and_b32_e32 v27, 0x3f0, v28
	v_lshrrev_b32_e32 v26, 2, v4
	v_and_b32_e32 v28, 0x3f0, v29
	v_fma_f64 v[29:30], v[71:72], v[77:78], v[63:64]
	v_and_b32_e32 v26, 0x3f0, v26
	v_add_nc_u32_e32 v27, s25, v27
	buffer_store_dword v29, off, s[68:71], 0 offset:144 ; 4-byte Folded Spill
	buffer_store_dword v30, off, s[68:71], 0 offset:148 ; 4-byte Folded Spill
	v_fma_f64 v[30:31], v[81:82], v[85:86], -v[41:42]
	s_waitcnt lgkmcnt(0)
	v_mul_f64 v[65:66], v[59:60], v[24:25]
	v_mul_f64 v[67:68], v[57:58], v[24:25]
	v_fma_f64 v[24:25], v[83:84], v[85:86], v[61:62]
	v_and_b32_e32 v29, 63, v4
	v_add_nc_u32_e32 v28, s25, v28
	buffer_store_dword v30, off, s[68:71], 0 offset:152 ; 4-byte Folded Spill
	buffer_store_dword v31, off, s[68:71], 0 offset:156 ; 4-byte Folded Spill
	v_lshl_add_u32 v29, v29, 4, 0
	v_add_nc_u32_e32 v30, s25, v26
	ds_read_b128 v[237:240], v27 offset:2048
	ds_read_b128 v[233:236], v28 offset:2048
	buffer_store_dword v24, off, s[68:71], 0 offset:168 ; 4-byte Folded Spill
	buffer_store_dword v25, off, s[68:71], 0 offset:172 ; 4-byte Folded Spill
	ds_read_b128 v[24:27], v29 offset:32368
	ds_read_b128 v[61:64], v30 offset:1024
	v_fma_f64 v[28:29], v[57:58], v[22:23], -v[65:66]
	v_fma_f64 v[22:23], v[59:60], v[22:23], v[67:68]
	v_add_nc_u32_e32 v4, v4, v21
	buffer_store_dword v28, off, s[68:71], 0 offset:160 ; 4-byte Folded Spill
	buffer_store_dword v29, off, s[68:71], 0 offset:164 ; 4-byte Folded Spill
	buffer_store_dword v22, off, s[68:71], 0 offset:176 ; 4-byte Folded Spill
	buffer_store_dword v23, off, s[68:71], 0 offset:180 ; 4-byte Folded Spill
	s_waitcnt lgkmcnt(0)
	v_mul_f64 v[22:23], v[26:27], v[63:64]
	v_mul_f64 v[57:58], v[24:25], v[63:64]
	v_lshrrev_b32_e32 v28, 2, v4
	v_and_b32_e32 v29, 63, v4
	v_and_b32_e32 v28, 0x3f0, v28
	v_lshl_add_u32 v29, v29, 4, 0
	v_add_nc_u32_e32 v28, s25, v28
	v_fma_f64 v[22:23], v[24:25], v[61:62], -v[22:23]
	buffer_store_dword v22, off, s[68:71], 0 offset:184 ; 4-byte Folded Spill
	buffer_store_dword v23, off, s[68:71], 0 offset:188 ; 4-byte Folded Spill
	v_fma_f64 v[22:23], v[26:27], v[61:62], v[57:58]
	buffer_store_dword v22, off, s[68:71], 0 offset:192 ; 4-byte Folded Spill
	buffer_store_dword v23, off, s[68:71], 0 offset:196 ; 4-byte Folded Spill
	ds_read_b128 v[22:25], v28 offset:1024
	ds_read_b128 v[65:68], v29 offset:32368
	v_add_nc_u32_e32 v28, v4, v21
	v_lshrrev_b32_e32 v4, 8, v4
	v_lshrrev_b32_e32 v26, 8, v28
	v_and_b32_e32 v4, 0x3f0, v4
	v_and_b32_e32 v26, 0x3f0, v26
	v_add_nc_u32_e32 v4, s25, v4
	v_add_nc_u32_e32 v26, s25, v26
	ds_read_b128 v[61:64], v4 offset:2048
	ds_read_b128 v[57:60], v26 offset:2048
	s_waitcnt lgkmcnt(2)
	v_mul_f64 v[26:27], v[67:68], v[24:25]
	v_mul_f64 v[24:25], v[65:66], v[24:25]
	v_lshrrev_b32_e32 v4, 2, v28
	v_and_b32_e32 v4, 0x3f0, v4
	v_add_nc_u32_e32 v4, s25, v4
	v_fma_f64 v[26:27], v[65:66], v[22:23], -v[26:27]
	v_fma_f64 v[22:23], v[67:68], v[22:23], v[24:25]
	buffer_store_dword v26, off, s[68:71], 0 offset:200 ; 4-byte Folded Spill
	buffer_store_dword v27, off, s[68:71], 0 offset:204 ; 4-byte Folded Spill
	;; [unrolled: 1-line block ×4, first 2 shown]
	v_and_b32_e32 v22, 63, v28
	v_lshl_add_u32 v22, v22, 4, 0
	ds_read_b128 v[22:25], v22 offset:32368
	ds_read_b128 v[65:68], v4 offset:1024
	v_add_nc_u32_e32 v4, v28, v21
	v_add_nc_u32_e32 v21, v4, v21
	s_waitcnt lgkmcnt(0)
	v_mul_f64 v[26:27], v[24:25], v[67:68]
	v_fma_f64 v[26:27], v[22:23], v[65:66], -v[26:27]
	v_mul_f64 v[22:23], v[22:23], v[67:68]
	buffer_store_dword v26, off, s[68:71], 0 offset:216 ; 4-byte Folded Spill
	buffer_store_dword v27, off, s[68:71], 0 offset:220 ; 4-byte Folded Spill
	v_fma_f64 v[22:23], v[24:25], v[65:66], v[22:23]
	buffer_store_dword v22, off, s[68:71], 0 offset:224 ; 4-byte Folded Spill
	buffer_store_dword v23, off, s[68:71], 0 offset:228 ; 4-byte Folded Spill
	v_lshrrev_b32_e32 v22, 2, v4
	v_lshrrev_b32_e32 v23, 8, v4
	;; [unrolled: 1-line block ×3, first 2 shown]
	v_and_b32_e32 v4, 63, v4
	v_and_b32_e32 v22, 0x3f0, v22
	;; [unrolled: 1-line block ×4, first 2 shown]
	v_lshl_add_u32 v4, v4, 4, 0
	v_add_nc_u32_e32 v22, s25, v22
	v_add_nc_u32_e32 v23, s25, v23
	;; [unrolled: 1-line block ×3, first 2 shown]
	ds_read_b128 v[25:28], v22 offset:1024
	ds_read_b128 v[65:68], v4 offset:32368
	;; [unrolled: 1-line block ×4, first 2 shown]
	v_lshrrev_b32_e32 v4, 2, v21
	v_and_b32_e32 v21, 63, v21
	v_and_b32_e32 v4, 0x3f0, v4
	v_lshl_add_u32 v21, v21, 4, 0
	v_add_nc_u32_e32 v4, s25, v4
	s_waitcnt lgkmcnt(2)
	v_mul_f64 v[77:78], v[67:68], v[27:28]
	v_mul_f64 v[27:28], v[65:66], v[27:28]
	v_fma_f64 v[22:23], v[65:66], v[25:26], -v[77:78]
	buffer_store_dword v22, off, s[68:71], 0 offset:712 ; 4-byte Folded Spill
	buffer_store_dword v23, off, s[68:71], 0 offset:716 ; 4-byte Folded Spill
	v_fma_f64 v[22:23], v[67:68], v[25:26], v[27:28]
	buffer_store_dword v22, off, s[68:71], 0 offset:720 ; 4-byte Folded Spill
	buffer_store_dword v23, off, s[68:71], 0 offset:724 ; 4-byte Folded Spill
	ds_read_b128 v[25:28], v21 offset:32368
	ds_read_b128 v[65:68], v4 offset:1024
	v_mul_u32_u24_e32 v4, 0x70, v114
	s_waitcnt lgkmcnt(0)
	v_mul_f64 v[77:78], v[27:28], v[67:68]
	v_fma_f64 v[21:22], v[25:26], v[65:66], -v[77:78]
	v_mul_f64 v[25:26], v[25:26], v[67:68]
	buffer_store_dword v21, off, s[68:71], 0 offset:128 ; 4-byte Folded Spill
	buffer_store_dword v22, off, s[68:71], 0 offset:132 ; 4-byte Folded Spill
	v_fma_f64 v[21:22], v[27:28], v[65:66], v[25:26]
	buffer_store_dword v21, off, s[68:71], 0 offset:120 ; 4-byte Folded Spill
	buffer_store_dword v22, off, s[68:71], 0 offset:124 ; 4-byte Folded Spill
	v_lshlrev_b32_e32 v21, 4, v251
	v_add3_u32 v4, 0, v4, v21
	v_lshlrev_b32_e32 v21, 8, v99
	global_load_dwordx4 v[25:28], v21, s[26:27] offset:112
	ds_read_b128 v[65:68], v4 offset:15232
	ds_read_b128 v[77:80], v4 offset:17136
	global_load_dwordx4 v[81:84], v21, s[26:27] offset:96
	s_waitcnt vmcnt(1) lgkmcnt(1)
	v_mul_f64 v[85:86], v[65:66], v[27:28]
	v_mul_f64 v[27:28], v[67:68], v[27:28]
	v_fma_f64 v[47:48], v[67:68], v[25:26], v[85:86]
	v_fma_f64 v[89:90], v[65:66], v[25:26], -v[27:28]
	s_clause 0x1
	global_load_dwordx4 v[25:28], v21, s[26:27] offset:128
	global_load_dwordx4 v[65:68], v21, s[26:27] offset:144
	s_waitcnt vmcnt(1) lgkmcnt(0)
	v_mul_f64 v[85:86], v[77:78], v[27:28]
	v_mul_f64 v[27:28], v[79:80], v[27:28]
	v_fma_f64 v[51:52], v[79:80], v[25:26], v[85:86]
	v_fma_f64 v[99:100], v[77:78], v[25:26], -v[27:28]
	ds_read_b128 v[25:28], v4 offset:13328
	ds_read_b128 v[77:80], v4 offset:11424
	s_waitcnt lgkmcnt(1)
	v_mul_f64 v[85:86], v[25:26], v[83:84]
	v_fma_f64 v[103:104], v[27:28], v[81:82], v[85:86]
	v_mul_f64 v[27:28], v[27:28], v[83:84]
	v_fma_f64 v[111:112], v[25:26], v[81:82], -v[27:28]
	ds_read_b128 v[25:28], v4 offset:19040
	ds_read_b128 v[81:84], v4 offset:20944
	s_waitcnt vmcnt(0) lgkmcnt(1)
	v_mul_f64 v[85:86], v[25:26], v[67:68]
	v_fma_f64 v[43:44], v[27:28], v[65:66], v[85:86]
	v_mul_f64 v[27:28], v[27:28], v[67:68]
	v_fma_f64 v[101:102], v[25:26], v[65:66], -v[27:28]
	s_clause 0x1
	global_load_dwordx4 v[25:28], v21, s[26:27] offset:80
	global_load_dwordx4 v[65:68], v21, s[26:27] offset:64
	s_waitcnt vmcnt(1)
	v_mul_f64 v[85:86], v[77:78], v[27:28]
	v_mul_f64 v[27:28], v[79:80], v[27:28]
	v_fma_f64 v[119:120], v[79:80], v[25:26], v[85:86]
	v_fma_f64 v[123:124], v[77:78], v[25:26], -v[27:28]
	s_clause 0x1
	global_load_dwordx4 v[25:28], v21, s[26:27] offset:160
	global_load_dwordx4 v[77:80], v21, s[26:27] offset:176
	s_waitcnt vmcnt(1) lgkmcnt(0)
	v_mul_f64 v[85:86], v[81:82], v[27:28]
	v_mul_f64 v[27:28], v[83:84], v[27:28]
	v_fma_f64 v[109:110], v[83:84], v[25:26], v[85:86]
	v_fma_f64 v[113:114], v[81:82], v[25:26], -v[27:28]
	ds_read_b128 v[25:28], v4 offset:9520
	ds_read_b128 v[81:84], v4 offset:7616
	s_waitcnt lgkmcnt(1)
	v_mul_f64 v[85:86], v[25:26], v[67:68]
	v_fma_f64 v[125:126], v[27:28], v[65:66], v[85:86]
	v_mul_f64 v[27:28], v[27:28], v[67:68]
	v_fma_f64 v[127:128], v[25:26], v[65:66], -v[27:28]
	ds_read_b128 v[25:28], v4 offset:22848
	ds_read_b128 v[65:68], v4 offset:24752
	s_waitcnt vmcnt(0) lgkmcnt(1)
	v_mul_f64 v[85:86], v[25:26], v[79:80]
	v_fma_f64 v[31:32], v[27:28], v[77:78], v[85:86]
	v_mul_f64 v[27:28], v[27:28], v[79:80]
	v_fma_f64 v[115:116], v[25:26], v[77:78], -v[27:28]
	s_clause 0x1
	global_load_dwordx4 v[25:28], v21, s[26:27] offset:48
	global_load_dwordx4 v[77:80], v21, s[26:27] offset:32
	s_waitcnt vmcnt(1)
	v_mul_f64 v[85:86], v[81:82], v[27:28]
	v_mul_f64 v[27:28], v[83:84], v[27:28]
	v_fma_f64 v[129:130], v[83:84], v[25:26], v[85:86]
	v_fma_f64 v[131:132], v[81:82], v[25:26], -v[27:28]
	s_clause 0x1
	global_load_dwordx4 v[25:28], v21, s[26:27] offset:192
	global_load_dwordx4 v[81:84], v21, s[26:27] offset:208
	s_waitcnt vmcnt(1) lgkmcnt(0)
	v_mul_f64 v[85:86], v[65:66], v[27:28]
	v_mul_f64 v[27:28], v[67:68], v[27:28]
	v_fma_f64 v[22:23], v[67:68], v[25:26], v[85:86]
	v_fma_f64 v[121:122], v[65:66], v[25:26], -v[27:28]
	ds_read_b128 v[25:28], v4 offset:5712
	ds_read_b128 v[65:68], v4 offset:3808
	s_waitcnt lgkmcnt(1)
	v_mul_f64 v[85:86], v[25:26], v[79:80]
	v_fma_f64 v[133:134], v[27:28], v[77:78], v[85:86]
	v_mul_f64 v[27:28], v[27:28], v[79:80]
	v_fma_f64 v[137:138], v[25:26], v[77:78], -v[27:28]
	ds_read_b128 v[25:28], v4 offset:26656
	ds_read_b128 v[77:80], v4 offset:28560
	s_waitcnt vmcnt(0) lgkmcnt(1)
	v_mul_f64 v[85:86], v[25:26], v[83:84]
	v_fma_f64 v[29:30], v[27:28], v[81:82], v[85:86]
	v_mul_f64 v[27:28], v[27:28], v[83:84]
	v_fma_f64 v[39:40], v[25:26], v[81:82], -v[27:28]
	s_clause 0x1
	global_load_dwordx4 v[25:28], v21, s[26:27] offset:16
	global_load_dwordx4 v[81:84], v21, s[26:27]
	s_waitcnt vmcnt(1)
	v_mul_f64 v[85:86], v[65:66], v[27:28]
	v_mul_f64 v[27:28], v[67:68], v[27:28]
	v_fma_f64 v[45:46], v[67:68], v[25:26], v[85:86]
	v_fma_f64 v[139:140], v[65:66], v[25:26], -v[27:28]
	s_clause 0x1
	global_load_dwordx4 v[25:28], v21, s[26:27] offset:224
	global_load_dwordx4 v[85:88], v21, s[26:27] offset:240
	s_waitcnt vmcnt(1) lgkmcnt(0)
	v_mul_f64 v[65:66], v[77:78], v[27:28]
	v_mul_f64 v[27:28], v[79:80], v[27:28]
	v_fma_f64 v[33:34], v[79:80], v[25:26], v[65:66]
	v_fma_f64 v[41:42], v[77:78], v[25:26], -v[27:28]
	ds_read_b128 v[25:28], v4 offset:1904
	ds_read_b128 v[65:68], v4
	buffer_store_dword v251, off, s[68:71], 0 offset:116 ; 4-byte Folded Spill
	s_waitcnt lgkmcnt(1)
	v_mul_f64 v[77:78], v[25:26], v[83:84]
	v_fma_f64 v[251:252], v[27:28], v[81:82], v[77:78]
	v_mul_f64 v[27:28], v[27:28], v[83:84]
	v_fma_f64 v[253:254], v[25:26], v[81:82], -v[27:28]
	ds_read_b128 v[25:28], v4 offset:30464
	s_waitcnt vmcnt(0) lgkmcnt(0)
	v_mul_f64 v[77:78], v[25:26], v[87:88]
	v_fma_f64 v[35:36], v[27:28], v[85:86], v[77:78]
	v_mul_f64 v[27:28], v[27:28], v[87:88]
	v_fma_f64 v[27:28], v[25:26], v[85:86], -v[27:28]
	v_mul_f64 v[25:26], v[2:3], v[7:8]
	v_mul_f64 v[7:8], v[0:1], v[7:8]
	v_fma_f64 v[25:26], v[5:6], v[0:1], -v[25:26]
	v_fma_f64 v[5:6], v[5:6], v[2:3], v[7:8]
	v_mov_b32_e32 v2, v35
	v_mov_b32_e32 v3, v36
	buffer_store_dword v2, off, s[68:71], 0 offset:248 ; 4-byte Folded Spill
	buffer_store_dword v3, off, s[68:71], 0 offset:252 ; 4-byte Folded Spill
	;; [unrolled: 1-line block ×4, first 2 shown]
	v_mul_f64 v[7:8], v[107:108], v[11:12]
	v_mul_f64 v[11:12], v[105:106], v[11:12]
	v_fma_f64 v[83:84], v[9:10], v[105:106], -v[7:8]
	v_fma_f64 v[77:78], v[9:10], v[107:108], v[11:12]
	v_mul_f64 v[11:12], v[135:136], v[19:20]
	v_mov_b32_e32 v7, v45
	v_mov_b32_e32 v8, v46
	v_fma_f64 v[153:154], v[17:18], v[117:118], -v[11:12]
	v_mul_f64 v[11:12], v[117:118], v[19:20]
	v_fma_f64 v[155:156], v[17:18], v[135:136], v[11:12]
	v_mul_f64 v[11:12], v[179:180], v[15:16]
	v_fma_f64 v[79:80], v[13:14], v[177:178], -v[11:12]
	v_mul_f64 v[11:12], v[177:178], v[15:16]
	v_fma_f64 v[49:50], v[13:14], v[179:180], v[11:12]
	v_mul_f64 v[13:14], v[173:174], v[75:76]
	v_mul_f64 v[11:12], v[175:176], v[75:76]
	v_fma_f64 v[81:82], v[73:74], v[175:176], v[13:14]
	v_fma_f64 v[85:86], v[73:74], v[173:174], -v[11:12]
	v_add_f64 v[37:38], v[251:252], v[2:3]
	v_add_f64 v[15:16], v[253:254], -v[27:28]
	v_add_f64 v[45:46], v[251:252], -v[2:3]
	v_mul_f64 v[0:1], v[37:38], s[10:11]
	buffer_store_dword v0, off, s[68:71], 0 offset:728 ; 4-byte Folded Spill
	buffer_store_dword v1, off, s[68:71], 0 offset:732 ; 4-byte Folded Spill
	;; [unrolled: 1-line block ×6, first 2 shown]
	v_mul_f64 v[2:3], v[45:46], s[44:45]
	v_mul_f64 v[149:150], v[37:38], s[42:43]
	;; [unrolled: 1-line block ×4, first 2 shown]
	v_fma_f64 v[13:14], v[15:16], s[46:47], v[0:1]
	v_mov_b32_e32 v0, v41
	v_mov_b32_e32 v1, v42
	buffer_store_dword v0, off, s[68:71], 0 offset:272 ; 4-byte Folded Spill
	buffer_store_dword v1, off, s[68:71], 0 offset:276 ; 4-byte Folded Spill
	;; [unrolled: 1-line block ×4, first 2 shown]
	v_add_f64 v[35:36], v[7:8], v[33:34]
	v_add_f64 v[41:42], v[7:8], -v[33:34]
	v_add_f64 v[13:14], v[67:68], v[13:14]
	v_mul_f64 v[11:12], v[35:36], s[42:43]
	buffer_store_dword v11, off, s[68:71], 0 offset:296 ; 4-byte Folded Spill
	buffer_store_dword v12, off, s[68:71], 0 offset:300 ; 4-byte Folded Spill
	;; [unrolled: 1-line block ×4, first 2 shown]
	v_mul_f64 v[135:136], v[35:36], s[20:21]
	v_mul_f64 v[141:142], v[41:42], s[48:49]
	;; [unrolled: 1-line block ×3, first 2 shown]
	v_add_f64 v[173:174], v[139:140], -v[0:1]
	v_add_f64 v[185:186], v[139:140], v[0:1]
	v_mul_f64 v[0:1], v[41:42], s[40:41]
	buffer_store_dword v0, off, s[68:71], 0 offset:328 ; 4-byte Folded Spill
	buffer_store_dword v1, off, s[68:71], 0 offset:332 ; 4-byte Folded Spill
	v_mul_f64 v[139:140], v[45:46], s[28:29]
	v_fma_f64 v[19:20], v[173:174], s[56:57], v[11:12]
	v_add_f64 v[13:14], v[19:20], v[13:14]
	v_add_f64 v[19:20], v[253:254], v[27:28]
	v_fma_f64 v[73:74], v[19:20], s[10:11], v[2:3]
	v_mov_b32_e32 v2, v39
	v_mov_b32_e32 v3, v40
	v_add_f64 v[73:74], v[65:66], v[73:74]
	v_fma_f64 v[75:76], v[185:186], s[42:43], v[0:1]
	v_mov_b32_e32 v0, v29
	v_mov_b32_e32 v1, v30
	buffer_store_dword v0, off, s[68:71], 0 offset:280 ; 4-byte Folded Spill
	buffer_store_dword v1, off, s[68:71], 0 offset:284 ; 4-byte Folded Spill
	;; [unrolled: 1-line block ×8, first 2 shown]
	v_add_f64 v[73:74], v[75:76], v[73:74]
	v_add_f64 v[29:30], v[133:134], v[0:1]
	v_add_f64 v[39:40], v[133:134], -v[0:1]
	v_add_f64 v[177:178], v[137:138], -v[2:3]
	v_add_f64 v[197:198], v[137:138], v[2:3]
	v_mul_f64 v[11:12], v[29:30], s[22:23]
	buffer_store_dword v11, off, s[68:71], 0 offset:312 ; 4-byte Folded Spill
	buffer_store_dword v12, off, s[68:71], 0 offset:316 ; 4-byte Folded Spill
	v_mul_f64 v[0:1], v[39:40], s[36:37]
	buffer_store_dword v0, off, s[68:71], 0 offset:352 ; 4-byte Folded Spill
	buffer_store_dword v1, off, s[68:71], 0 offset:356 ; 4-byte Folded Spill
	v_mul_f64 v[175:176], v[29:30], s[38:39]
	v_mul_f64 v[137:138], v[39:40], s[56:57]
	;; [unrolled: 1-line block ×3, first 2 shown]
	v_fma_f64 v[75:76], v[177:178], s[52:53], v[11:12]
	v_add_f64 v[13:14], v[75:76], v[13:14]
	v_fma_f64 v[75:76], v[197:198], s[22:23], v[0:1]
	v_mov_b32_e32 v0, v22
	v_mov_b32_e32 v1, v23
	buffer_store_dword v0, off, s[68:71], 0 offset:304 ; 4-byte Folded Spill
	buffer_store_dword v1, off, s[68:71], 0 offset:308 ; 4-byte Folded Spill
	;; [unrolled: 1-line block ×8, first 2 shown]
	v_add_f64 v[73:74], v[75:76], v[73:74]
	v_add_f64 v[23:24], v[129:130], v[0:1]
	v_add_f64 v[33:34], v[129:130], -v[0:1]
	v_add_f64 v[181:182], v[131:132], -v[121:122]
	v_add_f64 v[205:206], v[131:132], v[121:122]
	v_mul_f64 v[129:130], v[29:30], s[42:43]
	v_mul_f64 v[11:12], v[23:24], s[34:35]
	;; [unrolled: 1-line block ×3, first 2 shown]
	buffer_store_dword v11, off, s[68:71], 0 offset:320 ; 4-byte Folded Spill
	buffer_store_dword v12, off, s[68:71], 0 offset:324 ; 4-byte Folded Spill
	;; [unrolled: 1-line block ×12, first 2 shown]
	v_mul_f64 v[165:166], v[23:24], s[10:11]
	v_mul_f64 v[183:184], v[33:34], s[46:47]
	;; [unrolled: 1-line block ×3, first 2 shown]
	v_fma_f64 v[75:76], v[181:182], s[60:61], v[11:12]
	v_add_f64 v[11:12], v[125:126], v[31:32]
	v_add_f64 v[31:32], v[125:126], -v[31:32]
	v_add_f64 v[187:188], v[127:128], -v[115:116]
	v_add_f64 v[217:218], v[127:128], v[115:116]
	v_mul_f64 v[125:126], v[23:24], s[22:23]
	v_add_f64 v[13:14], v[75:76], v[13:14]
	v_fma_f64 v[75:76], v[205:206], s[34:35], v[0:1]
	v_mul_f64 v[17:18], v[11:12], s[38:39]
	v_mul_f64 v[0:1], v[31:32], s[16:17]
	buffer_store_dword v17, off, s[68:71], 0 offset:336 ; 4-byte Folded Spill
	buffer_store_dword v18, off, s[68:71], 0 offset:340 ; 4-byte Folded Spill
	;; [unrolled: 1-line block ×8, first 2 shown]
	v_add_f64 v[73:74], v[75:76], v[73:74]
	buffer_store_dword v113, off, s[68:71], 0 offset:472 ; 4-byte Folded Spill
	buffer_store_dword v114, off, s[68:71], 0 offset:476 ; 4-byte Folded Spill
	;; [unrolled: 1-line block ×4, first 2 shown]
	v_mul_f64 v[159:160], v[11:12], s[22:23]
	v_mul_f64 v[179:180], v[31:32], s[36:37]
	;; [unrolled: 1-line block ×3, first 2 shown]
	v_fma_f64 v[75:76], v[187:188], s[50:51], v[17:18]
	v_add_f64 v[7:8], v[119:120], v[109:110]
	v_add_f64 v[27:28], v[119:120], -v[109:110]
	v_add_f64 v[193:194], v[123:124], -v[113:114]
	v_add_f64 v[221:222], v[123:124], v[113:114]
	v_mul_f64 v[109:110], v[45:46], s[16:17]
	v_mul_f64 v[119:120], v[11:12], s[14:15]
	v_add_f64 v[13:14], v[75:76], v[13:14]
	v_fma_f64 v[75:76], v[217:218], s[38:39], v[0:1]
	v_mul_f64 v[21:22], v[7:8], s[30:31]
	buffer_store_dword v21, off, s[68:71], 0 offset:344 ; 4-byte Folded Spill
	buffer_store_dword v22, off, s[68:71], 0 offset:348 ; 4-byte Folded Spill
	v_mul_f64 v[0:1], v[27:28], s[12:13]
	buffer_store_dword v0, off, s[68:71], 0 offset:408 ; 4-byte Folded Spill
	buffer_store_dword v1, off, s[68:71], 0 offset:412 ; 4-byte Folded Spill
	v_add_f64 v[73:74], v[75:76], v[73:74]
	v_mul_f64 v[151:152], v[7:8], s[20:21]
	v_mul_f64 v[167:168], v[27:28], s[6:7]
	;; [unrolled: 1-line block ×4, first 2 shown]
	v_fma_f64 v[75:76], v[193:194], s[58:59], v[21:22]
	v_add_f64 v[13:14], v[75:76], v[13:14]
	v_fma_f64 v[75:76], v[221:222], s[30:31], v[0:1]
	v_mov_b32_e32 v0, v43
	v_mov_b32_e32 v1, v44
	buffer_store_dword v0, off, s[68:71], 0 offset:512 ; 4-byte Folded Spill
	buffer_store_dword v1, off, s[68:71], 0 offset:516 ; 4-byte Folded Spill
	;; [unrolled: 1-line block ×8, first 2 shown]
	v_add_f64 v[73:74], v[75:76], v[73:74]
	v_add_f64 v[2:3], v[103:104], v[0:1]
	v_add_f64 v[199:200], v[111:112], -v[101:102]
	v_add_f64 v[225:226], v[111:112], v[101:102]
	v_mul_f64 v[111:112], v[37:38], s[34:35]
	v_mul_f64 v[101:102], v[11:12], s[34:35]
	;; [unrolled: 1-line block ×3, first 2 shown]
	buffer_store_dword v21, off, s[68:71], 0 offset:368 ; 4-byte Folded Spill
	buffer_store_dword v22, off, s[68:71], 0 offset:372 ; 4-byte Folded Spill
	v_mul_f64 v[147:148], v[2:3], s[30:31]
	v_mul_f64 v[113:114], v[2:3], s[10:11]
	v_fma_f64 v[75:76], v[199:200], s[48:49], v[21:22]
	v_add_f64 v[21:22], v[103:104], -v[0:1]
	v_mul_f64 v[103:104], v[23:24], s[20:21]
	v_add_f64 v[13:14], v[75:76], v[13:14]
	v_mul_f64 v[0:1], v[21:22], s[6:7]
	buffer_store_dword v0, off, s[68:71], 0 offset:416 ; 4-byte Folded Spill
	buffer_store_dword v1, off, s[68:71], 0 offset:420 ; 4-byte Folded Spill
	v_mul_f64 v[163:164], v[21:22], s[58:59]
	v_mul_f64 v[123:124], v[21:22], s[44:45]
	v_fma_f64 v[43:44], v[225:226], s[20:21], v[0:1]
	v_mov_b32_e32 v0, v47
	v_mov_b32_e32 v1, v48
	;; [unrolled: 1-line block ×4, first 2 shown]
	buffer_store_dword v0, off, s[68:71], 0 offset:584 ; 4-byte Folded Spill
	buffer_store_dword v1, off, s[68:71], 0 offset:588 ; 4-byte Folded Spill
	;; [unrolled: 1-line block ×8, first 2 shown]
	v_add_f64 v[43:44], v[43:44], v[73:74]
	v_add_f64 v[17:18], v[0:1], -v[47:48]
	v_add_f64 v[209:210], v[89:90], v[99:100]
	v_add_f64 v[207:208], v[89:90], -v[99:100]
	v_mul_f64 v[99:100], v[7:8], s[42:43]
	v_mul_f64 v[89:90], v[2:3], s[14:15]
	v_mul_f64 v[9:10], v[17:18], s[4:5]
	buffer_store_dword v9, off, s[68:71], 0 offset:392 ; 4-byte Folded Spill
	buffer_store_dword v10, off, s[68:71], 0 offset:396 ; 4-byte Folded Spill
	v_mul_f64 v[161:162], v[17:18], s[56:57]
	v_mul_f64 v[121:122], v[17:18], s[12:13]
	v_fma_f64 v[73:74], v[209:210], s[14:15], v[9:10]
	v_add_f64 v[9:10], v[0:1], v[47:48]
	v_add_f64 v[43:44], v[73:74], v[43:44]
	v_mul_f64 v[0:1], v[9:10], s[14:15]
	buffer_store_dword v0, off, s[68:71], 0 offset:384 ; 4-byte Folded Spill
	buffer_store_dword v1, off, s[68:71], 0 offset:388 ; 4-byte Folded Spill
	v_mul_f64 v[157:158], v[9:10], s[42:43]
	v_mul_f64 v[117:118], v[9:10], s[30:31]
	v_fma_f64 v[51:52], v[207:208], s[54:55], v[0:1]
	v_mul_f64 v[0:1], v[35:36], s[34:35]
	v_add_f64 v[13:14], v[51:52], v[13:14]
	v_mul_f64 v[51:52], v[43:44], v[5:6]
	v_mul_f64 v[4:5], v[13:14], v[5:6]
	v_fma_f64 v[75:76], v[13:14], v[25:26], v[51:52]
	v_fma_f64 v[13:14], v[15:16], s[56:57], v[149:150]
	v_fma_f64 v[73:74], v[43:44], v[25:26], -v[4:5]
	buffer_store_dword v73, off, s[68:71], 0 offset:16 ; 4-byte Folded Spill
	buffer_store_dword v74, off, s[68:71], 0 offset:20 ; 4-byte Folded Spill
	;; [unrolled: 1-line block ×6, first 2 shown]
	v_add_f64 v[13:14], v[67:68], v[13:14]
	v_mul_f64 v[4:5], v[21:22], s[28:29]
	v_fma_f64 v[25:26], v[173:174], s[60:61], v[0:1]
	v_mul_f64 v[0:1], v[45:46], s[40:41]
	buffer_store_dword v0, off, s[68:71], 0 offset:856 ; 4-byte Folded Spill
	buffer_store_dword v1, off, s[68:71], 0 offset:860 ; 4-byte Folded Spill
	v_add_f64 v[25:26], v[25:26], v[13:14]
	v_mul_f64 v[13:14], v[45:46], s[12:13]
	v_fma_f64 v[43:44], v[19:20], s[42:43], v[0:1]
	v_mul_f64 v[0:1], v[41:42], s[28:29]
	buffer_store_dword v0, off, s[68:71], 0 offset:624 ; 4-byte Folded Spill
	buffer_store_dword v1, off, s[68:71], 0 offset:628 ; 4-byte Folded Spill
	v_add_f64 v[43:44], v[65:66], v[43:44]
	v_fma_f64 v[51:52], v[185:186], s[34:35], v[0:1]
	v_mul_f64 v[0:1], v[29:30], s[30:31]
	buffer_store_dword v0, off, s[68:71], 0 offset:672 ; 4-byte Folded Spill
	buffer_store_dword v1, off, s[68:71], 0 offset:676 ; 4-byte Folded Spill
	v_add_f64 v[43:44], v[51:52], v[43:44]
	;; [unrolled: 5-line block ×13, first 2 shown]
	v_fma_f64 v[51:52], v[207:208], s[44:45], v[0:1]
	v_mul_f64 v[0:1], v[35:36], s[30:31]
	v_add_f64 v[25:26], v[51:52], v[25:26]
	v_mul_f64 v[51:52], v[43:44], v[77:78]
	v_mul_f64 v[73:74], v[25:26], v[77:78]
	v_fma_f64 v[75:76], v[25:26], v[83:84], v[51:52]
	v_fma_f64 v[25:26], v[15:16], s[52:53], v[143:144]
	v_mul_f64 v[77:78], v[33:34], s[6:7]
	v_fma_f64 v[73:74], v[43:44], v[83:84], -v[73:74]
	buffer_store_dword v73, off, s[68:71], 0 offset:32 ; 4-byte Folded Spill
	buffer_store_dword v74, off, s[68:71], 0 offset:36 ; 4-byte Folded Spill
	;; [unrolled: 1-line block ×6, first 2 shown]
	v_add_f64 v[25:26], v[67:68], v[25:26]
	v_mul_f64 v[83:84], v[39:40], s[44:45]
	v_fma_f64 v[43:44], v[173:174], s[58:59], v[0:1]
	v_mul_f64 v[0:1], v[41:42], s[12:13]
	buffer_store_dword v0, off, s[68:71], 0 offset:744 ; 4-byte Folded Spill
	buffer_store_dword v1, off, s[68:71], 0 offset:748 ; 4-byte Folded Spill
	v_add_f64 v[25:26], v[43:44], v[25:26]
	v_fma_f64 v[43:44], v[19:20], s[22:23], v[145:146]
	v_add_f64 v[43:44], v[65:66], v[43:44]
	v_fma_f64 v[51:52], v[185:186], s[30:31], v[0:1]
	v_mul_f64 v[0:1], v[29:30], s[14:15]
	buffer_store_dword v0, off, s[68:71], 0 offset:784 ; 4-byte Folded Spill
	buffer_store_dword v1, off, s[68:71], 0 offset:788 ; 4-byte Folded Spill
	v_add_f64 v[43:44], v[51:52], v[43:44]
	v_fma_f64 v[51:52], v[177:178], s[4:5], v[0:1]
	v_mul_f64 v[0:1], v[39:40], s[54:55]
	buffer_store_dword v0, off, s[68:71], 0 offset:752 ; 4-byte Folded Spill
	buffer_store_dword v1, off, s[68:71], 0 offset:756 ; 4-byte Folded Spill
	;; [unrolled: 5-line block ×7, first 2 shown]
	v_add_f64 v[51:52], v[51:52], v[43:44]
	v_mul_f64 v[43:44], v[17:18], s[52:53]
	v_fma_f64 v[73:74], v[193:194], s[46:47], v[0:1]
	v_mul_f64 v[0:1], v[27:28], s[44:45]
	buffer_store_dword v0, off, s[68:71], 0 offset:792 ; 4-byte Folded Spill
	buffer_store_dword v1, off, s[68:71], 0 offset:796 ; 4-byte Folded Spill
	v_add_f64 v[73:74], v[73:74], v[25:26]
	v_fma_f64 v[25:26], v[221:222], s[10:11], v[0:1]
	v_mul_f64 v[0:1], v[2:3], s[34:35]
	buffer_store_dword v0, off, s[68:71], 0 offset:848 ; 4-byte Folded Spill
	buffer_store_dword v1, off, s[68:71], 0 offset:852 ; 4-byte Folded Spill
	;; [unrolled: 1-line block ×4, first 2 shown]
	v_add_f64 v[51:52], v[25:26], v[51:52]
	v_mul_f64 v[25:26], v[9:10], s[22:23]
	v_fma_f64 v[107:108], v[199:200], s[60:61], v[0:1]
	v_fma_f64 v[47:48], v[225:226], s[34:35], v[4:5]
	v_mul_f64 v[4:5], v[17:18], s[6:7]
	buffer_store_dword v4, off, s[68:71], 0 offset:824 ; 4-byte Folded Spill
	buffer_store_dword v5, off, s[68:71], 0 offset:828 ; 4-byte Folded Spill
	v_add_f64 v[0:1], v[107:108], v[73:74]
	v_add_f64 v[47:48], v[47:48], v[51:52]
	v_mul_f64 v[107:108], v[35:36], s[38:39]
	v_fma_f64 v[73:74], v[209:210], s[20:21], v[4:5]
	v_mul_f64 v[4:5], v[9:10], s[20:21]
	buffer_store_dword v4, off, s[68:71], 0 offset:832 ; 4-byte Folded Spill
	buffer_store_dword v5, off, s[68:71], 0 offset:836 ; 4-byte Folded Spill
	v_add_f64 v[47:48], v[73:74], v[47:48]
	v_fma_f64 v[247:248], v[207:208], s[48:49], v[4:5]
	v_mul_f64 v[4:5], v[41:42], s[52:53]
	v_add_f64 v[0:1], v[247:248], v[0:1]
	v_mul_f64 v[247:248], v[47:48], v[155:156]
	v_fma_f64 v[241:242], v[185:186], s[22:23], v[4:5]
	v_fma_f64 v[4:5], v[185:186], s[22:23], -v[4:5]
	v_mul_f64 v[155:156], v[0:1], v[155:156]
	v_fma_f64 v[75:76], v[0:1], v[153:154], v[247:248]
	v_mul_f64 v[0:1], v[41:42], s[4:5]
	v_mul_f64 v[247:248], v[35:36], s[14:15]
	;; [unrolled: 1-line block ×3, first 2 shown]
	v_fma_f64 v[73:74], v[47:48], v[153:154], -v[155:156]
	buffer_store_dword v73, off, s[68:71], 0 offset:48 ; 4-byte Folded Spill
	buffer_store_dword v74, off, s[68:71], 0 offset:52 ; 4-byte Folded Spill
	;; [unrolled: 1-line block ×6, first 2 shown]
	v_fma_f64 v[47:48], v[15:16], s[60:61], v[111:112]
	v_fma_f64 v[153:154], v[173:174], s[54:55], v[247:248]
	v_mul_f64 v[75:76], v[31:32], s[60:61]
	v_mul_f64 v[73:74], v[27:28], s[40:41]
	v_add_f64 v[47:48], v[67:68], v[47:48]
	v_add_f64 v[47:48], v[153:154], v[47:48]
	v_fma_f64 v[153:154], v[19:20], s[34:35], v[139:140]
	v_add_f64 v[153:154], v[65:66], v[153:154]
	v_fma_f64 v[155:156], v[185:186], s[14:15], v[0:1]
	v_mul_f64 v[0:1], v[39:40], s[50:51]
	buffer_store_dword v0, off, s[68:71], 0 offset:872 ; 4-byte Folded Spill
	buffer_store_dword v1, off, s[68:71], 0 offset:876 ; 4-byte Folded Spill
	v_add_f64 v[153:154], v[155:156], v[153:154]
	v_fma_f64 v[155:156], v[177:178], s[16:17], v[175:176]
	v_add_f64 v[47:48], v[155:156], v[47:48]
	v_fma_f64 v[155:156], v[197:198], s[38:39], v[0:1]
	;; [unrolled: 2-line block ×12, first 2 shown]
	v_add_f64 v[47:48], v[155:156], v[47:48]
	v_mul_f64 v[155:156], v[153:154], v[49:50]
	v_mul_f64 v[49:50], v[47:48], v[49:50]
	v_fma_f64 v[51:52], v[47:48], v[79:80], v[155:156]
	v_fma_f64 v[49:50], v[153:154], v[79:80], -v[49:50]
	v_mul_f64 v[79:80], v[37:38], s[38:39]
	buffer_store_dword v49, off, s[68:71], 0 offset:64 ; 4-byte Folded Spill
	buffer_store_dword v50, off, s[68:71], 0 offset:68 ; 4-byte Folded Spill
	;; [unrolled: 1-line block ×4, first 2 shown]
	v_fma_f64 v[47:48], v[15:16], s[50:51], v[79:80]
	v_fma_f64 v[49:50], v[173:174], s[6:7], v[135:136]
	;; [unrolled: 1-line block ×3, first 2 shown]
	v_add_f64 v[47:48], v[67:68], v[47:48]
	v_add_f64 v[47:48], v[49:50], v[47:48]
	v_fma_f64 v[49:50], v[19:20], s[38:39], v[109:110]
	v_add_f64 v[49:50], v[65:66], v[49:50]
	v_add_f64 v[49:50], v[153:154], v[49:50]
	v_fma_f64 v[153:154], v[177:178], s[40:41], v[129:130]
	v_add_f64 v[47:48], v[153:154], v[47:48]
	v_fma_f64 v[153:154], v[197:198], s[42:43], v[137:138]
	;; [unrolled: 2-line block ×12, first 2 shown]
	v_add_f64 v[47:48], v[153:154], v[47:48]
	v_mul_f64 v[153:154], v[49:50], v[81:82]
	v_mul_f64 v[81:82], v[47:48], v[81:82]
	v_fma_f64 v[51:52], v[47:48], v[85:86], v[153:154]
	v_mul_f64 v[47:48], v[211:212], v[215:216]
	v_fma_f64 v[49:50], v[49:50], v[85:86], -v[81:82]
	v_mul_f64 v[81:82], v[37:38], s[30:31]
	buffer_store_dword v49, off, s[68:71], 0 offset:80 ; 4-byte Folded Spill
	buffer_store_dword v50, off, s[68:71], 0 offset:84 ; 4-byte Folded Spill
	;; [unrolled: 1-line block ×4, first 2 shown]
	v_mul_f64 v[49:50], v[195:196], v[215:216]
	v_fma_f64 v[85:86], v[15:16], s[58:59], v[81:82]
	v_fma_f64 v[47:48], v[213:214], v[195:196], -v[47:48]
	v_fma_f64 v[215:216], v[185:186], s[38:39], v[87:88]
	v_mul_f64 v[51:52], v[21:22], s[4:5]
	v_fma_f64 v[49:50], v[213:214], v[211:212], v[49:50]
	v_add_f64 v[85:86], v[67:68], v[85:86]
	v_fma_f64 v[213:214], v[173:174], s[16:17], v[107:108]
	v_add_f64 v[85:86], v[213:214], v[85:86]
	;; [unrolled: 2-line block ×8, first 2 shown]
	v_add_f64 v[213:214], v[215:216], v[213:214]
	v_fma_f64 v[215:216], v[197:198], s[10:11], v[83:84]
	v_add_f64 v[213:214], v[215:216], v[213:214]
	v_fma_f64 v[215:216], v[205:206], s[20:21], v[77:78]
	;; [unrolled: 2-line block ×6, first 2 shown]
	v_fma_f64 v[43:44], v[209:210], s[22:23], -v[43:44]
	v_add_f64 v[213:214], v[215:216], v[213:214]
	v_fma_f64 v[215:216], v[207:208], s[36:37], v[25:26]
	v_add_f64 v[85:86], v[215:216], v[85:86]
	v_mul_f64 v[215:216], v[213:214], v[49:50]
	v_mul_f64 v[49:50], v[85:86], v[49:50]
	v_fma_f64 v[155:156], v[85:86], v[47:48], v[215:216]
	v_mul_f64 v[85:86], v[37:38], s[20:21]
	v_mul_f64 v[37:38], v[37:38], s[14:15]
	v_fma_f64 v[153:154], v[213:214], v[47:48], -v[49:50]
	v_mul_f64 v[47:48], v[191:192], v[55:56]
	v_mul_f64 v[49:50], v[189:190], v[55:56]
	v_mul_f64 v[55:56], v[35:36], s[22:23]
	buffer_store_dword v153, off, s[68:71], 0 offset:100 ; 4-byte Folded Spill
	buffer_store_dword v154, off, s[68:71], 0 offset:104 ; 4-byte Folded Spill
	;; [unrolled: 1-line block ×4, first 2 shown]
	v_fma_f64 v[47:48], v[53:54], v[189:190], -v[47:48]
	v_fma_f64 v[49:50], v[53:54], v[191:192], v[49:50]
	v_fma_f64 v[53:54], v[15:16], s[48:49], v[85:86]
	;; [unrolled: 1-line block ×3, first 2 shown]
	v_mul_f64 v[35:36], v[35:36], s[10:11]
	v_add_f64 v[53:54], v[67:68], v[53:54]
	v_add_f64 v[53:54], v[153:154], v[53:54]
	v_mul_f64 v[153:154], v[29:30], s[34:35]
	v_fma_f64 v[155:156], v[177:178], s[60:61], v[153:154]
	v_add_f64 v[53:54], v[155:156], v[53:54]
	v_mul_f64 v[155:156], v[23:24], s[30:31]
	v_mul_f64 v[23:24], v[23:24], s[42:43]
	v_fma_f64 v[213:214], v[181:182], s[12:13], v[155:156]
	v_add_f64 v[53:54], v[213:214], v[53:54]
	v_mul_f64 v[213:214], v[11:12], s[10:11]
	;; [unrolled: 4-line block ×5, first 2 shown]
	v_mul_f64 v[45:46], v[45:46], s[4:5]
	v_fma_f64 v[243:244], v[19:20], s[20:21], v[245:246]
	v_add_f64 v[243:244], v[65:66], v[243:244]
	v_add_f64 v[241:242], v[241:242], v[243:244]
	v_mul_f64 v[243:244], v[39:40], s[28:29]
	v_mul_f64 v[39:40], v[39:40], s[6:7]
	v_fma_f64 v[223:224], v[197:198], s[34:35], v[243:244]
	v_add_f64 v[223:224], v[223:224], v[241:242]
	v_mul_f64 v[241:242], v[33:34], s[58:59]
	v_mul_f64 v[33:34], v[33:34], s[56:57]
	v_fma_f64 v[227:228], v[205:206], s[30:31], v[241:242]
	v_add_f64 v[223:224], v[227:228], v[223:224]
	v_mul_f64 v[227:228], v[31:32], s[44:45]
	v_fma_f64 v[219:220], v[217:218], s[10:11], v[227:228]
	v_add_f64 v[219:220], v[219:220], v[223:224]
	v_mul_f64 v[223:224], v[27:28], s[4:5]
	v_mul_f64 v[27:28], v[27:28], s[52:53]
	v_fma_f64 v[211:212], v[221:222], s[14:15], v[223:224]
	v_add_f64 v[211:212], v[211:212], v[219:220]
	v_mul_f64 v[219:220], v[21:22], s[56:57]
	v_mul_f64 v[21:22], v[21:22], s[16:17]
	v_fma_f64 v[195:196], v[225:226], s[42:43], v[219:220]
	v_add_f64 v[195:196], v[195:196], v[211:212]
	v_mul_f64 v[211:212], v[17:18], s[16:17]
	v_mul_f64 v[17:18], v[17:18], s[60:61]
	v_fma_f64 v[191:192], v[209:210], s[38:39], v[211:212]
	v_add_f64 v[191:192], v[191:192], v[195:196]
	v_mul_f64 v[195:196], v[9:10], s[38:39]
	v_mul_f64 v[8:9], v[9:10], s[34:35]
	v_fma_f64 v[189:190], v[207:208], s[50:51], v[195:196]
	v_add_f64 v[53:54], v[189:190], v[53:54]
	v_mul_f64 v[189:190], v[191:192], v[49:50]
	v_mul_f64 v[0:1], v[53:54], v[49:50]
	v_fma_f64 v[49:50], v[53:54], v[47:48], v[189:190]
	s_clause 0x3
	buffer_load_dword v189, off, s[68:71], 0 offset:240
	buffer_load_dword v190, off, s[68:71], 0 offset:244
	;; [unrolled: 1-line block ×4, first 2 shown]
	v_fma_f64 v[47:48], v[191:192], v[47:48], -v[0:1]
	s_waitcnt vmcnt(2)
	v_mul_f64 v[0:1], v[189:190], v[93:94]
	s_waitcnt vmcnt(0)
	v_fma_f64 v[0:1], v[91:92], v[53:54], -v[0:1]
	v_mul_f64 v[53:54], v[53:54], v[93:94]
	v_fma_f64 v[93:94], v[173:174], s[44:45], v[35:36]
	v_fma_f64 v[35:36], v[173:174], s[46:47], v[35:36]
	;; [unrolled: 1-line block ×6, first 2 shown]
	v_add_f64 v[91:92], v[67:68], v[91:92]
	v_add_f64 v[37:38], v[67:68], v[37:38]
	;; [unrolled: 1-line block ×3, first 2 shown]
	v_mul_f64 v[93:94], v[29:30], s[20:21]
	v_add_f64 v[35:36], v[35:36], v[37:38]
	v_fma_f64 v[29:30], v[177:178], s[48:49], v[93:94]
	v_fma_f64 v[37:38], v[177:178], s[6:7], v[93:94]
	v_add_f64 v[29:30], v[29:30], v[91:92]
	v_fma_f64 v[91:92], v[181:182], s[40:41], v[23:24]
	v_add_f64 v[35:36], v[37:38], v[35:36]
	;; [unrolled: 2-line block ×4, first 2 shown]
	v_fma_f64 v[10:11], v[187:188], s[12:13], v[11:12]
	v_fma_f64 v[12:13], v[19:20], s[30:31], -v[13:14]
	v_add_f64 v[29:30], v[91:92], v[29:30]
	v_fma_f64 v[91:92], v[193:194], s[36:37], v[6:7]
	v_add_f64 v[10:11], v[10:11], v[23:24]
	v_fma_f64 v[6:7], v[193:194], s[52:53], v[6:7]
	v_add_f64 v[12:13], v[65:66], v[12:13]
	v_add_f64 v[29:30], v[91:92], v[29:30]
	v_fma_f64 v[91:92], v[199:200], s[50:51], v[2:3]
	v_add_f64 v[6:7], v[6:7], v[10:11]
	v_fma_f64 v[2:3], v[199:200], s[16:17], v[2:3]
	v_fma_f64 v[10:11], v[185:186], s[10:11], -v[41:42]
	v_add_f64 v[41:42], v[67:68], v[251:252]
	v_add_f64 v[29:30], v[91:92], v[29:30]
	v_fma_f64 v[91:92], v[19:20], s[14:15], v[45:46]
	v_add_f64 v[2:3], v[2:3], v[6:7]
	v_fma_f64 v[6:7], v[19:20], s[14:15], -v[45:46]
	v_fma_f64 v[45:46], v[173:174], s[50:51], v[107:108]
	v_add_f64 v[91:92], v[65:66], v[91:92]
	v_add_f64 v[6:7], v[65:66], v[6:7]
	;; [unrolled: 1-line block ×3, first 2 shown]
	v_fma_f64 v[189:190], v[197:198], s[20:21], v[39:40]
	v_add_f64 v[6:7], v[10:11], v[6:7]
	v_fma_f64 v[10:11], v[197:198], s[20:21], -v[39:40]
	v_add_f64 v[91:92], v[189:190], v[91:92]
	v_fma_f64 v[189:190], v[205:206], s[42:43], v[33:34]
	v_add_f64 v[6:7], v[10:11], v[6:7]
	v_fma_f64 v[10:11], v[205:206], s[42:43], -v[33:34]
	v_add_f64 v[91:92], v[189:190], v[91:92]
	v_mul_f64 v[189:190], v[31:32], s[12:13]
	v_add_f64 v[6:7], v[10:11], v[6:7]
	v_fma_f64 v[31:32], v[217:218], s[30:31], v[189:190]
	v_fma_f64 v[10:11], v[217:218], s[30:31], -v[189:190]
	v_add_f64 v[31:32], v[31:32], v[91:92]
	v_fma_f64 v[91:92], v[221:222], s[22:23], v[27:28]
	v_add_f64 v[6:7], v[10:11], v[6:7]
	v_fma_f64 v[10:11], v[221:222], s[22:23], -v[27:28]
	v_add_f64 v[31:32], v[91:92], v[31:32]
	v_fma_f64 v[91:92], v[225:226], s[38:39], v[21:22]
	v_add_f64 v[6:7], v[10:11], v[6:7]
	v_fma_f64 v[10:11], v[225:226], s[38:39], -v[21:22]
	v_fma_f64 v[21:22], v[19:20], s[22:23], -v[145:146]
	v_add_f64 v[31:32], v[91:92], v[31:32]
	v_fma_f64 v[91:92], v[209:210], s[34:35], v[17:18]
	v_add_f64 v[6:7], v[10:11], v[6:7]
	v_fma_f64 v[10:11], v[209:210], s[34:35], -v[17:18]
	v_add_f64 v[91:92], v[91:92], v[31:32]
	v_fma_f64 v[31:32], v[207:208], s[28:29], v[8:9]
	v_fma_f64 v[8:9], v[207:208], s[60:61], v[8:9]
	v_add_f64 v[6:7], v[10:11], v[6:7]
	v_add_f64 v[29:30], v[31:32], v[29:30]
	v_mul_f64 v[31:32], v[91:92], v[53:54]
	v_add_f64 v[2:3], v[8:9], v[2:3]
	v_mul_f64 v[53:54], v[29:30], v[53:54]
	v_fma_f64 v[31:32], v[29:30], v[0:1], v[31:32]
	v_fma_f64 v[29:30], v[91:92], v[0:1], -v[53:54]
	s_clause 0x3
	buffer_load_dword v91, off, s[68:71], 0 offset:144
	buffer_load_dword v92, off, s[68:71], 0 offset:148
	;; [unrolled: 1-line block ×4, first 2 shown]
	s_waitcnt vmcnt(2)
	v_mul_f64 v[0:1], v[91:92], v[97:98]
	s_waitcnt vmcnt(0)
	v_fma_f64 v[0:1], v[95:96], v[53:54], -v[0:1]
	v_mul_f64 v[53:54], v[53:54], v[97:98]
	s_clause 0x1
	buffer_load_dword v97, off, s[68:71], 0 offset:168
	buffer_load_dword v98, off, s[68:71], 0 offset:172
	v_fma_f64 v[53:54], v[95:96], v[91:92], v[53:54]
	s_clause 0x1
	buffer_load_dword v95, off, s[68:71], 0 offset:152
	buffer_load_dword v96, off, s[68:71], 0 offset:156
	v_mul_f64 v[8:9], v[6:7], v[53:54]
	v_mul_f64 v[10:11], v[2:3], v[53:54]
	v_fma_f64 v[35:36], v[2:3], v[0:1], v[8:9]
	v_fma_f64 v[33:34], v[6:7], v[0:1], -v[10:11]
	v_fma_f64 v[0:1], v[15:16], s[6:7], v[85:86]
	v_fma_f64 v[2:3], v[173:174], s[52:53], v[55:56]
	;; [unrolled: 1-line block ×3, first 2 shown]
	v_add_f64 v[0:1], v[67:68], v[0:1]
	v_add_f64 v[8:9], v[67:68], v[8:9]
	;; [unrolled: 1-line block ×3, first 2 shown]
	v_fma_f64 v[2:3], v[177:178], s[28:29], v[153:154]
	v_add_f64 v[0:1], v[2:3], v[0:1]
	v_fma_f64 v[2:3], v[181:182], s[58:59], v[155:156]
	v_add_f64 v[0:1], v[2:3], v[0:1]
	;; [unrolled: 2-line block ×5, first 2 shown]
	v_fma_f64 v[2:3], v[19:20], s[20:21], -v[245:246]
	v_add_f64 v[2:3], v[65:66], v[2:3]
	v_add_f64 v[2:3], v[4:5], v[2:3]
	v_fma_f64 v[4:5], v[197:198], s[34:35], -v[243:244]
	v_add_f64 v[2:3], v[4:5], v[2:3]
	v_fma_f64 v[4:5], v[205:206], s[30:31], -v[241:242]
	;; [unrolled: 2-line block ×3, first 2 shown]
	s_waitcnt vmcnt(2)
	v_mul_f64 v[91:92], v[97:98], v[231:232]
	v_add_f64 v[2:3], v[4:5], v[2:3]
	v_fma_f64 v[4:5], v[221:222], s[14:15], -v[223:224]
	s_waitcnt vmcnt(0)
	v_fma_f64 v[91:92], v[229:230], v[95:96], -v[91:92]
	v_mul_f64 v[95:96], v[95:96], v[231:232]
	v_add_f64 v[2:3], v[4:5], v[2:3]
	v_fma_f64 v[4:5], v[225:226], s[42:43], -v[219:220]
	v_fma_f64 v[95:96], v[229:230], v[97:98], v[95:96]
	s_clause 0x3
	buffer_load_dword v229, off, s[68:71], 0 offset:176
	buffer_load_dword v230, off, s[68:71], 0 offset:180
	;; [unrolled: 1-line block ×4, first 2 shown]
	v_add_f64 v[2:3], v[4:5], v[2:3]
	v_fma_f64 v[4:5], v[209:210], s[38:39], -v[211:212]
	v_add_f64 v[2:3], v[4:5], v[2:3]
	v_fma_f64 v[4:5], v[207:208], s[16:17], v[195:196]
	v_add_f64 v[0:1], v[4:5], v[0:1]
	v_mul_f64 v[4:5], v[2:3], v[95:96]
	v_mul_f64 v[6:7], v[0:1], v[95:96]
	v_fma_f64 v[39:40], v[0:1], v[91:92], v[4:5]
	v_fma_f64 v[0:1], v[15:16], s[12:13], v[81:82]
	;; [unrolled: 1-line block ×3, first 2 shown]
	v_fma_f64 v[37:38], v[2:3], v[91:92], -v[6:7]
	v_fma_f64 v[2:3], v[15:16], s[16:17], v[79:80]
	v_add_f64 v[0:1], v[67:68], v[0:1]
	v_fma_f64 v[6:7], v[15:16], s[36:37], v[143:144]
	v_add_f64 v[4:5], v[67:68], v[4:5]
	v_add_f64 v[2:3], v[67:68], v[2:3]
	;; [unrolled: 1-line block ×3, first 2 shown]
	v_fma_f64 v[45:46], v[177:178], s[44:45], v[105:106]
	v_add_f64 v[6:7], v[67:68], v[6:7]
	v_add_f64 v[0:1], v[45:46], v[0:1]
	v_fma_f64 v[45:46], v[181:182], s[6:7], v[103:104]
	v_add_f64 v[0:1], v[45:46], v[0:1]
	v_fma_f64 v[45:46], v[187:188], s[60:61], v[101:102]
	v_add_f64 v[0:1], v[45:46], v[0:1]
	v_fma_f64 v[45:46], v[193:194], s[40:41], v[99:100]
	v_add_f64 v[0:1], v[45:46], v[0:1]
	v_fma_f64 v[45:46], v[199:200], s[4:5], v[89:90]
	v_add_f64 v[0:1], v[45:46], v[0:1]
	v_fma_f64 v[45:46], v[185:186], s[38:39], -v[87:88]
	v_add_f64 v[12:13], v[45:46], v[12:13]
	v_fma_f64 v[45:46], v[197:198], s[10:11], -v[83:84]
	;; [unrolled: 2-line block ×4, first 2 shown]
	s_waitcnt vmcnt(2)
	v_mul_f64 v[97:98], v[229:230], v[239:240]
	v_add_f64 v[12:13], v[45:46], v[12:13]
	s_waitcnt vmcnt(0)
	v_fma_f64 v[97:98], v[237:238], v[191:192], -v[97:98]
	v_mul_f64 v[191:192], v[191:192], v[239:240]
	v_fma_f64 v[45:46], v[221:222], s[42:43], -v[73:74]
	v_fma_f64 v[191:192], v[237:238], v[229:230], v[191:192]
	s_clause 0x3
	buffer_load_dword v237, off, s[68:71], 0 offset:192
	buffer_load_dword v238, off, s[68:71], 0 offset:196
	;; [unrolled: 1-line block ×4, first 2 shown]
	v_add_f64 v[12:13], v[45:46], v[12:13]
	v_fma_f64 v[45:46], v[225:226], s[14:15], -v[51:52]
	v_add_f64 v[12:13], v[45:46], v[12:13]
	v_add_f64 v[12:13], v[43:44], v[12:13]
	s_waitcnt vmcnt(2)
	v_mul_f64 v[229:230], v[237:238], v[235:236]
	s_waitcnt vmcnt(0)
	v_fma_f64 v[229:230], v[233:234], v[231:232], -v[229:230]
	v_mul_f64 v[231:232], v[231:232], v[235:236]
	s_clause 0x1
	buffer_load_dword v235, off, s[68:71], 0 offset:200
	buffer_load_dword v236, off, s[68:71], 0 offset:204
	v_fma_f64 v[231:232], v[233:234], v[237:238], v[231:232]
	s_clause 0x1
	buffer_load_dword v237, off, s[68:71], 0 offset:208
	buffer_load_dword v238, off, s[68:71], 0 offset:212
	s_waitcnt vmcnt(2)
	v_mul_f64 v[233:234], v[235:236], v[63:64]
	s_waitcnt vmcnt(0)
	v_mul_f64 v[63:64], v[237:238], v[63:64]
	v_fma_f64 v[233:234], v[61:62], v[237:238], v[233:234]
	v_fma_f64 v[61:62], v[61:62], v[235:236], -v[63:64]
	s_clause 0x3
	buffer_load_dword v235, off, s[68:71], 0 offset:216
	buffer_load_dword v236, off, s[68:71], 0 offset:220
	;; [unrolled: 1-line block ×4, first 2 shown]
	s_waitcnt vmcnt(2)
	v_mul_f64 v[63:64], v[235:236], v[59:60]
	s_waitcnt vmcnt(0)
	v_mul_f64 v[59:60], v[237:238], v[59:60]
	v_fma_f64 v[63:64], v[57:58], v[237:238], v[63:64]
	v_fma_f64 v[57:58], v[57:58], v[235:236], -v[59:60]
	s_clause 0x9
	buffer_load_dword v235, off, s[68:71], 0 offset:712
	buffer_load_dword v236, off, s[68:71], 0 offset:716
	;; [unrolled: 1-line block ×10, first 2 shown]
	s_waitcnt vmcnt(8)
	v_mul_f64 v[59:60], v[235:236], v[71:72]
	s_waitcnt vmcnt(6)
	v_mul_f64 v[71:72], v[237:238], v[71:72]
	s_waitcnt vmcnt(4)
	v_fma_f64 v[10:11], v[15:16], s[44:45], v[10:11]
	s_waitcnt vmcnt(2)
	v_fma_f64 v[23:24], v[19:20], s[42:43], -v[23:24]
	v_fma_f64 v[14:15], v[19:20], s[38:39], -v[109:110]
	;; [unrolled: 1-line block ×3, first 2 shown]
	s_waitcnt vmcnt(0)
	v_fma_f64 v[18:19], v[19:20], s[10:11], -v[27:28]
	v_add_f64 v[20:21], v[65:66], v[21:22]
	v_add_f64 v[27:28], v[65:66], v[253:254]
	v_fma_f64 v[59:60], v[69:70], v[237:238], v[59:60]
	v_fma_f64 v[69:70], v[69:70], v[235:236], -v[71:72]
	v_add_f64 v[10:11], v[67:68], v[10:11]
	v_add_f64 v[22:23], v[65:66], v[23:24]
	v_fma_f64 v[24:25], v[207:208], s[52:53], v[25:26]
	v_add_f64 v[14:15], v[65:66], v[14:15]
	v_add_f64 v[16:17], v[65:66], v[16:17]
	;; [unrolled: 1-line block ×4, first 2 shown]
	v_fma_f64 v[24:25], v[173:174], s[48:49], v[135:136]
	v_mul_f64 v[55:56], v[0:1], v[191:192]
	v_add_f64 v[2:3], v[24:25], v[2:3]
	v_fma_f64 v[24:25], v[177:178], s[56:57], v[129:130]
	v_add_f64 v[2:3], v[24:25], v[2:3]
	v_fma_f64 v[24:25], v[181:182], s[36:37], v[125:126]
	;; [unrolled: 2-line block ×5, first 2 shown]
	v_add_f64 v[2:3], v[24:25], v[2:3]
	v_fma_f64 v[24:25], v[185:186], s[20:21], -v[141:142]
	v_add_f64 v[14:15], v[24:25], v[14:15]
	v_fma_f64 v[24:25], v[197:198], s[42:43], -v[137:138]
	;; [unrolled: 2-line block ×7, first 2 shown]
	v_add_f64 v[14:15], v[24:25], v[14:15]
	v_fma_f64 v[24:25], v[207:208], s[12:13], v[117:118]
	v_mul_f64 v[67:68], v[14:15], v[231:232]
	v_add_f64 v[24:25], v[24:25], v[2:3]
	v_fma_f64 v[2:3], v[173:174], s[4:5], v[247:248]
	v_mul_f64 v[75:76], v[24:25], v[231:232]
	v_add_f64 v[2:3], v[2:3], v[4:5]
	v_fma_f64 v[4:5], v[177:178], s[50:51], v[175:176]
	v_add_f64 v[2:3], v[4:5], v[2:3]
	v_fma_f64 v[4:5], v[181:182], s[46:47], v[165:166]
	;; [unrolled: 2-line block ×5, first 2 shown]
	v_add_f64 v[2:3], v[4:5], v[2:3]
	s_clause 0x1
	buffer_load_dword v4, off, s[68:71], 0 offset:864
	buffer_load_dword v5, off, s[68:71], 0 offset:868
	s_waitcnt vmcnt(0)
	v_fma_f64 v[4:5], v[185:186], s[14:15], -v[4:5]
	v_add_f64 v[4:5], v[4:5], v[16:17]
	s_clause 0x1
	buffer_load_dword v16, off, s[68:71], 0 offset:872
	buffer_load_dword v17, off, s[68:71], 0 offset:876
	s_waitcnt vmcnt(0)
	v_fma_f64 v[16:17], v[197:198], s[38:39], -v[16:17]
	v_add_f64 v[4:5], v[16:17], v[4:5]
	v_fma_f64 v[16:17], v[205:206], s[10:11], -v[183:184]
	v_add_f64 v[4:5], v[16:17], v[4:5]
	;; [unrolled: 2-line block ×6, first 2 shown]
	v_fma_f64 v[4:5], v[207:208], s[56:57], v[157:158]
	v_mul_f64 v[79:80], v[16:17], v[233:234]
	v_add_f64 v[43:44], v[4:5], v[2:3]
	s_clause 0x3
	buffer_load_dword v2, off, s[68:71], 0 offset:760
	buffer_load_dword v3, off, s[68:71], 0 offset:764
	;; [unrolled: 1-line block ×4, first 2 shown]
	v_mul_f64 v[81:82], v[43:44], v[233:234]
	s_waitcnt vmcnt(2)
	v_fma_f64 v[2:3], v[173:174], s[12:13], v[2:3]
	s_waitcnt vmcnt(0)
	v_fma_f64 v[4:5], v[177:178], s[54:55], v[4:5]
	v_add_f64 v[2:3], v[2:3], v[6:7]
	v_add_f64 v[2:3], v[4:5], v[2:3]
	s_clause 0x1
	buffer_load_dword v4, off, s[68:71], 0 offset:800
	buffer_load_dword v5, off, s[68:71], 0 offset:804
	s_waitcnt vmcnt(0)
	v_fma_f64 v[4:5], v[181:182], s[50:51], v[4:5]
	v_add_f64 v[2:3], v[4:5], v[2:3]
	s_clause 0x1
	buffer_load_dword v4, off, s[68:71], 0 offset:816
	buffer_load_dword v5, off, s[68:71], 0 offset:820
	s_waitcnt vmcnt(0)
	v_fma_f64 v[4:5], v[187:188], s[56:57], v[4:5]
	;; [unrolled: 6-line block ×4, first 2 shown]
	v_add_f64 v[2:3], v[4:5], v[2:3]
	s_clause 0x3
	buffer_load_dword v4, off, s[68:71], 0 offset:744
	buffer_load_dword v5, off, s[68:71], 0 offset:748
	;; [unrolled: 1-line block ×4, first 2 shown]
	s_waitcnt vmcnt(2)
	v_fma_f64 v[4:5], v[185:186], s[30:31], -v[4:5]
	s_waitcnt vmcnt(0)
	v_fma_f64 v[6:7], v[197:198], s[14:15], -v[6:7]
	v_add_f64 v[4:5], v[4:5], v[20:21]
	v_add_f64 v[4:5], v[6:7], v[4:5]
	s_clause 0x1
	buffer_load_dword v6, off, s[68:71], 0 offset:768
	buffer_load_dword v7, off, s[68:71], 0 offset:772
	s_waitcnt vmcnt(0)
	v_fma_f64 v[6:7], v[205:206], s[38:39], -v[6:7]
	v_add_f64 v[4:5], v[6:7], v[4:5]
	s_clause 0x1
	buffer_load_dword v6, off, s[68:71], 0 offset:776
	buffer_load_dword v7, off, s[68:71], 0 offset:780
	s_waitcnt vmcnt(0)
	v_fma_f64 v[6:7], v[217:218], s[42:43], -v[6:7]
	;; [unrolled: 6-line block ×5, first 2 shown]
	v_add_f64 v[20:21], v[6:7], v[4:5]
	s_clause 0x1
	buffer_load_dword v4, off, s[68:71], 0 offset:832
	buffer_load_dword v5, off, s[68:71], 0 offset:836
	s_waitcnt vmcnt(0)
	v_fma_f64 v[4:5], v[207:208], s[6:7], v[4:5]
	v_add_f64 v[45:46], v[4:5], v[2:3]
	s_clause 0x5
	buffer_load_dword v2, off, s[68:71], 0 offset:456
	buffer_load_dword v3, off, s[68:71], 0 offset:460
	;; [unrolled: 1-line block ×6, first 2 shown]
	s_waitcnt vmcnt(4)
	v_add_f64 v[2:3], v[27:28], v[2:3]
	s_waitcnt vmcnt(2)
	v_fma_f64 v[4:5], v[173:174], s[28:29], v[4:5]
	s_waitcnt vmcnt(0)
	v_add_f64 v[6:7], v[41:42], v[6:7]
	v_add_f64 v[4:5], v[4:5], v[8:9]
	s_clause 0x1
	buffer_load_dword v8, off, s[68:71], 0 offset:480
	buffer_load_dword v9, off, s[68:71], 0 offset:484
	s_waitcnt vmcnt(0)
	v_add_f64 v[2:3], v[2:3], v[8:9]
	s_clause 0x1
	buffer_load_dword v8, off, s[68:71], 0 offset:672
	buffer_load_dword v9, off, s[68:71], 0 offset:676
	s_waitcnt vmcnt(0)
	v_fma_f64 v[8:9], v[177:178], s[12:13], v[8:9]
	v_add_f64 v[4:5], v[8:9], v[4:5]
	s_clause 0x1
	buffer_load_dword v8, off, s[68:71], 0 offset:464
	buffer_load_dword v9, off, s[68:71], 0 offset:468
	s_waitcnt vmcnt(0)
	v_add_f64 v[6:7], v[6:7], v[8:9]
	s_clause 0x1
	buffer_load_dword v8, off, s[68:71], 0 offset:496
	buffer_load_dword v9, off, s[68:71], 0 offset:500
	s_waitcnt vmcnt(0)
	v_add_f64 v[2:3], v[2:3], v[8:9]
	s_clause 0x1
	buffer_load_dword v8, off, s[68:71], 0 offset:680
	buffer_load_dword v9, off, s[68:71], 0 offset:684
	s_waitcnt vmcnt(0)
	v_fma_f64 v[8:9], v[181:182], s[4:5], v[8:9]
	v_add_f64 v[4:5], v[8:9], v[4:5]
	s_clause 0x1
	buffer_load_dword v8, off, s[68:71], 0 offset:488
	buffer_load_dword v9, off, s[68:71], 0 offset:492
	s_waitcnt vmcnt(0)
	;; [unrolled: 16-line block ×5, first 2 shown]
	v_add_f64 v[6:7], v[6:7], v[8:9]
	s_clause 0x1
	buffer_load_dword v8, off, s[68:71], 0 offset:592
	buffer_load_dword v9, off, s[68:71], 0 offset:596
	s_waitcnt vmcnt(0)
	v_add_f64 v[2:3], v[2:3], v[8:9]
	s_clause 0x1
	buffer_load_dword v8, off, s[68:71], 0 offset:624
	buffer_load_dword v9, off, s[68:71], 0 offset:628
	s_waitcnt vmcnt(0)
	v_fma_f64 v[8:9], v[185:186], s[34:35], -v[8:9]
	v_add_f64 v[8:9], v[8:9], v[22:23]
	s_clause 0x1
	buffer_load_dword v22, off, s[68:71], 0 offset:584
	buffer_load_dword v23, off, s[68:71], 0 offset:588
	s_waitcnt vmcnt(0)
	v_add_f64 v[6:7], v[6:7], v[22:23]
	s_clause 0x1
	buffer_load_dword v22, off, s[68:71], 0 offset:576
	buffer_load_dword v23, off, s[68:71], 0 offset:580
	s_waitcnt vmcnt(0)
	v_add_f64 v[2:3], v[2:3], v[22:23]
	s_clause 0x1
	buffer_load_dword v22, off, s[68:71], 0 offset:640
	buffer_load_dword v23, off, s[68:71], 0 offset:644
	s_waitcnt vmcnt(0)
	v_fma_f64 v[22:23], v[197:198], s[30:31], -v[22:23]
	v_add_f64 v[8:9], v[22:23], v[8:9]
	s_clause 0x1
	buffer_load_dword v22, off, s[68:71], 0 offset:560
	buffer_load_dword v23, off, s[68:71], 0 offset:564
	s_waitcnt vmcnt(0)
	v_add_f64 v[6:7], v[6:7], v[22:23]
	s_clause 0x1
	buffer_load_dword v22, off, s[68:71], 0 offset:528
	buffer_load_dword v23, off, s[68:71], 0 offset:532
	s_waitcnt vmcnt(0)
	v_add_f64 v[2:3], v[2:3], v[22:23]
	s_clause 0x1
	buffer_load_dword v22, off, s[68:71], 0 offset:656
	buffer_load_dword v23, off, s[68:71], 0 offset:660
	s_waitcnt vmcnt(0)
	v_fma_f64 v[22:23], v[205:206], s[14:15], -v[22:23]
	v_add_f64 v[8:9], v[22:23], v[8:9]
	s_clause 0x1
	buffer_load_dword v22, off, s[68:71], 0 offset:512
	buffer_load_dword v23, off, s[68:71], 0 offset:516
	s_waitcnt vmcnt(0)
	v_add_f64 v[6:7], v[6:7], v[22:23]
	s_clause 0x1
	buffer_load_dword v22, off, s[68:71], 0 offset:472
	buffer_load_dword v23, off, s[68:71], 0 offset:476
	s_waitcnt vmcnt(0)
	v_add_f64 v[2:3], v[2:3], v[22:23]
	s_clause 0x5
	buffer_load_dword v22, off, s[68:71], 0 offset:328
	buffer_load_dword v23, off, s[68:71], 0 offset:332
	buffer_load_dword v26, off, s[68:71], 0 offset:296
	buffer_load_dword v27, off, s[68:71], 0 offset:300
	buffer_load_dword v41, off, s[68:71], 0 offset:648
	buffer_load_dword v42, off, s[68:71], 0 offset:652
	s_waitcnt vmcnt(4)
	v_fma_f64 v[22:23], v[185:186], s[42:43], -v[22:23]
	s_waitcnt vmcnt(2)
	v_fma_f64 v[26:27], v[173:174], s[40:41], v[26:27]
	s_waitcnt vmcnt(0)
	v_fma_f64 v[41:42], v[217:218], s[20:21], -v[41:42]
	v_add_f64 v[18:19], v[22:23], v[18:19]
	v_add_f64 v[10:11], v[26:27], v[10:11]
	v_add_f64 v[8:9], v[41:42], v[8:9]
	s_clause 0x1
	buffer_load_dword v41, off, s[68:71], 0 offset:448
	buffer_load_dword v42, off, s[68:71], 0 offset:452
	s_waitcnt vmcnt(0)
	v_add_f64 v[6:7], v[6:7], v[41:42]
	s_clause 0x1
	buffer_load_dword v41, off, s[68:71], 0 offset:432
	buffer_load_dword v42, off, s[68:71], 0 offset:436
	s_waitcnt vmcnt(0)
	v_add_f64 v[2:3], v[2:3], v[41:42]
	s_clause 0x5
	buffer_load_dword v41, off, s[68:71], 0 offset:352
	buffer_load_dword v42, off, s[68:71], 0 offset:356
	buffer_load_dword v22, off, s[68:71], 0 offset:312
	buffer_load_dword v23, off, s[68:71], 0 offset:316
	buffer_load_dword v26, off, s[68:71], 0 offset:632
	buffer_load_dword v27, off, s[68:71], 0 offset:636
	s_waitcnt vmcnt(4)
	v_fma_f64 v[41:42], v[197:198], s[22:23], -v[41:42]
	s_waitcnt vmcnt(2)
	v_fma_f64 v[22:23], v[177:178], s[36:37], v[22:23]
	s_waitcnt vmcnt(0)
	v_fma_f64 v[26:27], v[221:222], s[38:39], -v[26:27]
	v_add_f64 v[18:19], v[41:42], v[18:19]
	v_add_f64 v[10:11], v[22:23], v[10:11]
	v_add_f64 v[8:9], v[26:27], v[8:9]
	s_clause 0x1
	buffer_load_dword v26, off, s[68:71], 0 offset:424
	buffer_load_dword v27, off, s[68:71], 0 offset:428
	s_waitcnt vmcnt(0)
	;; [unrolled: 26-line block ×3, first 2 shown]
	v_add_f64 v[6:7], v[6:7], v[22:23]
	s_clause 0x1
	buffer_load_dword v22, off, s[68:71], 0 offset:288
	buffer_load_dword v23, off, s[68:71], 0 offset:292
	s_waitcnt vmcnt(0)
	v_add_f64 v[2:3], v[2:3], v[22:23]
	s_clause 0x5
	buffer_load_dword v22, off, s[68:71], 0 offset:400
	buffer_load_dword v23, off, s[68:71], 0 offset:404
	;; [unrolled: 1-line block ×6, first 2 shown]
	s_waitcnt vmcnt(4)
	v_fma_f64 v[22:23], v[217:218], s[38:39], -v[22:23]
	s_waitcnt vmcnt(2)
	v_fma_f64 v[26:27], v[187:188], s[16:17], v[26:27]
	s_waitcnt vmcnt(0)
	v_fma_f64 v[41:42], v[209:210], s[10:11], -v[41:42]
	v_add_f64 v[18:19], v[22:23], v[18:19]
	v_add_f64 v[10:11], v[26:27], v[10:11]
	;; [unrolled: 1-line block ×3, first 2 shown]
	s_clause 0x1
	buffer_load_dword v8, off, s[68:71], 0 offset:280
	buffer_load_dword v9, off, s[68:71], 0 offset:284
	v_mul_f64 v[85:86], v[41:42], v[59:60]
	s_waitcnt vmcnt(0)
	v_add_f64 v[6:7], v[6:7], v[8:9]
	s_clause 0x1
	buffer_load_dword v8, off, s[68:71], 0 offset:272
	buffer_load_dword v9, off, s[68:71], 0 offset:276
	s_waitcnt vmcnt(0)
	v_add_f64 v[2:3], v[2:3], v[8:9]
	s_clause 0x5
	buffer_load_dword v8, off, s[68:71], 0 offset:408
	buffer_load_dword v9, off, s[68:71], 0 offset:412
	;; [unrolled: 1-line block ×6, first 2 shown]
	s_waitcnt vmcnt(4)
	v_fma_f64 v[8:9], v[221:222], s[30:31], -v[8:9]
	s_waitcnt vmcnt(2)
	v_fma_f64 v[22:23], v[193:194], s[12:13], v[22:23]
	s_waitcnt vmcnt(0)
	v_fma_f64 v[26:27], v[207:208], s[46:47], v[26:27]
	v_add_f64 v[10:11], v[22:23], v[10:11]
	v_add_f64 v[26:27], v[26:27], v[4:5]
	s_clause 0x1
	buffer_load_dword v4, off, s[68:71], 0 offset:264
	buffer_load_dword v5, off, s[68:71], 0 offset:268
	v_mul_f64 v[59:60], v[26:27], v[59:60]
	s_waitcnt vmcnt(0)
	v_add_f64 v[4:5], v[6:7], v[4:5]
	s_clause 0x1
	buffer_load_dword v6, off, s[68:71], 0 offset:256
	buffer_load_dword v7, off, s[68:71], 0 offset:260
	s_waitcnt vmcnt(0)
	v_add_f64 v[51:52], v[2:3], v[6:7]
	s_clause 0x1
	buffer_load_dword v2, off, s[68:71], 0 offset:416
	buffer_load_dword v3, off, s[68:71], 0 offset:420
	v_add_f64 v[6:7], v[8:9], v[18:19]
	s_clause 0xb
	buffer_load_dword v8, off, s[68:71], 0 offset:368
	buffer_load_dword v9, off, s[68:71], 0 offset:372
	buffer_load_dword v83, off, s[68:71], 0
	buffer_load_dword v84, off, s[68:71], 0 offset:4
	buffer_load_dword v22, off, s[68:71], 0 offset:8
	;; [unrolled: 1-line block ×9, first 2 shown]
	s_waitcnt vmcnt(12)
	v_fma_f64 v[2:3], v[225:226], s[20:21], -v[2:3]
	s_waitcnt vmcnt(10)
	v_fma_f64 v[8:9], v[199:200], s[6:7], v[8:9]
	s_waitcnt vmcnt(8)
	v_mul_f64 v[18:19], v[83:84], v[171:172]
	s_waitcnt vmcnt(4)
	v_add_f64 v[53:54], v[4:5], v[53:54]
	v_mul_f64 v[4:5], v[12:13], v[191:192]
	s_waitcnt vmcnt(2)
	v_fma_f64 v[65:66], v[209:210], s[14:15], -v[65:66]
	s_waitcnt vmcnt(0)
	v_mul_f64 v[73:74], v[89:90], v[203:204]
	v_add_f64 v[71:72], v[2:3], v[6:7]
	s_clause 0x1
	buffer_load_dword v2, off, s[68:71], 0 offset:384
	buffer_load_dword v3, off, s[68:71], 0 offset:388
	v_add_f64 v[9:10], v[8:9], v[10:11]
	v_fma_f64 v[18:19], v[169:170], v[22:23], v[18:19]
	v_mul_f64 v[22:23], v[22:23], v[171:172]
	v_fma_f64 v[7:8], v[24:25], v[229:230], v[67:68]
	v_add_f64 v[65:66], v[65:66], v[71:72]
	v_mul_f64 v[87:88], v[51:52], v[18:19]
	v_fma_f64 v[83:84], v[169:170], v[83:84], -v[22:23]
	v_mul_f64 v[22:23], v[20:21], v[63:64]
	v_mul_f64 v[63:64], v[45:46], v[63:64]
	s_waitcnt vmcnt(0)
	v_fma_f64 v[77:78], v[207:208], s[4:5], v[2:3]
	v_fma_f64 v[3:4], v[0:1], v[97:98], v[4:5]
	s_clause 0x1
	buffer_load_dword v5, off, s[68:71], 0 offset:120
	buffer_load_dword v6, off, s[68:71], 0 offset:124
	v_fma_f64 v[1:2], v[12:13], v[97:98], -v[55:56]
	v_fma_f64 v[11:12], v[43:44], v[61:62], v[79:80]
	buffer_load_dword v28, off, s[68:71], 0 offset:116 ; 4-byte Folded Reload
	v_mul_hi_u32 v0, 0x226b903, v255
	s_load_dwordx2 s[4:5], s[62:63], 0x0
	v_add_f64 v[43:44], v[77:78], v[9:10]
	buffer_load_dword v9, off, s[68:71], 0 offset:96 ; 4-byte Folded Reload
	s_waitcnt vmcnt(2)
	v_mul_f64 v[55:56], v[5:6], v[203:204]
	v_fma_f64 v[67:68], v[201:202], v[5:6], v[73:74]
	v_fma_f64 v[5:6], v[14:15], v[229:230], -v[75:76]
	s_waitcnt vmcnt(1)
	v_mad_u64_u32 v[71:72], null, s2, v28, 0
	v_mul_f64 v[73:74], v[53:54], v[18:19]
	v_fma_f64 v[13:14], v[20:21], v[57:58], -v[63:64]
	v_fma_f64 v[19:20], v[26:27], v[69:70], v[85:86]
	s_waitcnt lgkmcnt(0)
	s_mul_i32 s2, s5, s24
	s_waitcnt vmcnt(0)
	v_mad_u32_u24 v75, 0x121, v0, v9
	v_fma_f64 v[9:10], v[16:17], v[61:62], -v[81:82]
	v_mov_b32_e32 v0, v72
	v_fma_f64 v[17:18], v[41:42], v[69:70], -v[59:60]
	v_fma_f64 v[25:26], v[201:202], v[89:90], -v[55:56]
	v_mad_u64_u32 v[61:62], null, s0, v75, 0
	v_mad_u64_u32 v[41:42], null, s3, v28, v[0:1]
	v_add_nc_u32_e32 v55, 17, v75
	v_fma_f64 v[15:16], v[45:46], v[57:58], v[22:23]
	v_mul_f64 v[45:46], v[65:66], v[67:68]
	s_mul_hi_u32 s3, s4, s24
	v_mov_b32_e32 v27, v62
	s_add_i32 s3, s3, s2
	v_mov_b32_e32 v72, v41
	s_mul_i32 s2, s4, s24
	v_mad_u64_u32 v[41:42], null, s0, v55, 0
	v_mad_u64_u32 v[27:28], null, s1, v75, v[27:28]
	v_add_nc_u32_e32 v58, 34, v75
	v_fma_f64 v[23:24], v[53:54], v[83:84], v[87:88]
	v_fma_f64 v[21:22], v[51:52], v[83:84], -v[73:74]
	s_lshl_b64 s[2:3], s[2:3], 4
	v_mul_f64 v[51:52], v[43:44], v[67:68]
	s_add_u32 s4, s18, s2
	v_mov_b32_e32 v62, v27
	v_lshlrev_b64 v[27:28], 4, v[71:72]
	s_addc_u32 s5, s19, s3
	s_lshl_b64 s[2:3], s[8:9], 4
	v_mad_u64_u32 v[53:54], null, s0, v58, 0
	s_add_u32 s2, s4, s2
	v_mov_b32_e32 v0, v42
	s_addc_u32 s3, s5, s3
	v_add_co_u32 v63, vcc_lo, s2, v27
	v_add_co_ci_u32_e32 v64, vcc_lo, s3, v28, vcc_lo
	v_lshlrev_b64 v[27:28], 4, v[61:62]
	v_mad_u64_u32 v[55:56], null, s1, v55, v[0:1]
	v_mov_b32_e32 v0, v54
	v_add_nc_u32_e32 v61, 51, v75
	v_add_co_u32 v56, vcc_lo, v63, v27
	v_mad_u64_u32 v[58:59], null, s1, v58, v[0:1]
	v_add_co_ci_u32_e32 v57, vcc_lo, v64, v28, vcc_lo
	v_mad_u64_u32 v[59:60], null, s0, v61, 0
	v_fma_f64 v[27:28], v[43:44], v[25:26], v[45:46]
	v_add_nc_u32_e32 v46, 0x44, v75
	global_store_dwordx4 v[56:57], v[21:24], off
	v_fma_f64 v[25:26], v[65:66], v[25:26], -v[51:52]
	v_mov_b32_e32 v42, v55
	v_add_nc_u32_e32 v55, 0x55, v75
	v_mad_u64_u32 v[23:24], null, s0, v46, 0
	v_mov_b32_e32 v0, v60
	v_mov_b32_e32 v54, v58
	v_lshlrev_b64 v[21:22], 4, v[41:42]
	v_mad_u64_u32 v[43:44], null, s1, v61, v[0:1]
	v_mov_b32_e32 v0, v24
	v_mad_u64_u32 v[44:45], null, s0, v55, 0
	v_lshlrev_b64 v[41:42], 4, v[53:54]
	v_add_co_u32 v21, vcc_lo, v63, v21
	v_mad_u64_u32 v[51:52], null, s1, v46, v[0:1]
	v_add_nc_u32_e32 v54, 0x66, v75
	v_add_co_ci_u32_e32 v22, vcc_lo, v64, v22, vcc_lo
	v_add_co_u32 v41, vcc_lo, v63, v41
	v_mov_b32_e32 v60, v43
	v_mov_b32_e32 v0, v45
	v_add_co_ci_u32_e32 v42, vcc_lo, v64, v42, vcc_lo
	v_mad_u64_u32 v[52:53], null, s0, v54, 0
	v_mov_b32_e32 v24, v51
	global_store_dwordx4 v[21:22], v[25:28], off
	global_store_dwordx4 v[41:42], v[17:20], off
	v_lshlrev_b64 v[17:18], 4, v[59:60]
	v_mad_u64_u32 v[19:20], null, s1, v55, v[0:1]
	v_lshlrev_b64 v[20:21], 4, v[23:24]
	v_mov_b32_e32 v0, v53
	v_add_co_u32 v17, vcc_lo, v63, v17
	v_add_co_ci_u32_e32 v18, vcc_lo, v64, v18, vcc_lo
	v_mov_b32_e32 v45, v19
	v_add_co_u32 v19, vcc_lo, v63, v20
	v_mad_u64_u32 v[22:23], null, s1, v54, v[0:1]
	v_add_nc_u32_e32 v23, 0x77, v75
	v_add_co_ci_u32_e32 v20, vcc_lo, v64, v21, vcc_lo
	global_store_dwordx4 v[17:18], v[13:16], off
	v_lshlrev_b64 v[13:14], 4, v[44:45]
	v_mad_u64_u32 v[15:16], null, s0, v23, 0
	global_store_dwordx4 v[19:20], v[9:12], off
	v_add_nc_u32_e32 v19, 0x88, v75
	v_mov_b32_e32 v53, v22
	v_add_co_u32 v9, vcc_lo, v63, v13
	v_add_co_ci_u32_e32 v10, vcc_lo, v64, v14, vcc_lo
	v_mad_u64_u32 v[13:14], null, s0, v19, 0
	v_mov_b32_e32 v0, v16
	v_lshlrev_b64 v[11:12], 4, v[52:53]
	v_add_nc_u32_e32 v22, 0x99, v75
	global_store_dwordx4 v[9:10], v[5:8], off
	v_add_nc_u32_e32 v9, 0xbb, v75
	v_mad_u64_u32 v[16:17], null, s1, v23, v[0:1]
	v_mov_b32_e32 v0, v14
	v_add_co_u32 v11, vcc_lo, v63, v11
	v_mad_u64_u32 v[17:18], null, s0, v22, 0
	v_add_nc_u32_e32 v23, 0xaa, v75
	v_add_co_ci_u32_e32 v12, vcc_lo, v64, v12, vcc_lo
	v_mad_u64_u32 v[19:20], null, s1, v19, v[0:1]
	v_mad_u64_u32 v[20:21], null, s0, v23, 0
	global_store_dwordx4 v[11:12], v[1:4], off
	v_lshlrev_b64 v[1:2], 4, v[15:16]
	v_mov_b32_e32 v0, v18
	v_add_nc_u32_e32 v12, 0xee, v75
	v_mov_b32_e32 v14, v19
	v_add_nc_u32_e32 v10, 0xdd, v75
	v_add_nc_u32_e32 v15, 0xff, v75
	v_mad_u64_u32 v[3:4], null, s1, v22, v[0:1]
	v_mov_b32_e32 v0, v21
	v_add_co_u32 v1, vcc_lo, v63, v1
	v_lshlrev_b64 v[4:5], 4, v[13:14]
	v_add_co_ci_u32_e32 v2, vcc_lo, v64, v2, vcc_lo
	v_mad_u64_u32 v[6:7], null, s1, v23, v[0:1]
	v_mad_u64_u32 v[7:8], null, s0, v9, 0
	v_mov_b32_e32 v18, v3
	v_add_co_u32 v3, vcc_lo, v63, v4
	v_add_co_ci_u32_e32 v4, vcc_lo, v64, v5, vcc_lo
	v_mov_b32_e32 v21, v6
	global_store_dwordx4 v[1:2], v[37:40], off
	v_lshlrev_b64 v[1:2], 4, v[17:18]
	v_mov_b32_e32 v0, v8
	global_store_dwordx4 v[3:4], v[33:36], off
	v_lshlrev_b64 v[3:4], 4, v[20:21]
	v_add_nc_u32_e32 v16, 0x110, v75
	v_mad_u64_u32 v[5:6], null, s1, v9, v[0:1]
	v_add_co_u32 v0, vcc_lo, v63, v1
	v_add_co_ci_u32_e32 v1, vcc_lo, v64, v2, vcc_lo
	v_add_co_u32 v2, vcc_lo, v63, v3
	v_add_co_ci_u32_e32 v3, vcc_lo, v64, v4, vcc_lo
	global_store_dwordx4 v[0:1], v[29:32], off
	v_add_nc_u32_e32 v9, 0xcc, v75
	v_mov_b32_e32 v8, v5
	global_store_dwordx4 v[2:3], v[47:50], off
	s_clause 0x3
	buffer_load_dword v17, off, s[68:71], 0 offset:100
	buffer_load_dword v18, off, s[68:71], 0 offset:104
	;; [unrolled: 1-line block ×4, first 2 shown]
	v_mad_u64_u32 v[2:3], null, s0, v10, 0
	v_mad_u64_u32 v[4:5], null, s0, v9, 0
	v_lshlrev_b64 v[0:1], 4, v[7:8]
	v_mad_u64_u32 v[6:7], null, s0, v12, 0
	v_add_co_u32 v0, vcc_lo, v63, v0
	v_add_co_ci_u32_e32 v1, vcc_lo, v64, v1, vcc_lo
	v_mad_u64_u32 v[8:9], null, s1, v9, v[5:6]
	v_mad_u64_u32 v[9:10], null, s1, v10, v[3:4]
	v_mov_b32_e32 v3, v7
	v_mad_u64_u32 v[10:11], null, s0, v15, 0
	v_mov_b32_e32 v5, v8
	v_mad_u64_u32 v[12:13], null, s1, v12, v[3:4]
	v_mad_u64_u32 v[13:14], null, s0, v16, 0
	v_mov_b32_e32 v3, v9
	v_lshlrev_b64 v[4:5], 4, v[4:5]
	v_mov_b32_e32 v7, v12
	v_lshlrev_b64 v[2:3], 4, v[2:3]
	v_add_co_u32 v4, vcc_lo, v63, v4
	v_add_co_ci_u32_e32 v5, vcc_lo, v64, v5, vcc_lo
	v_lshlrev_b64 v[6:7], 4, v[6:7]
	s_waitcnt vmcnt(0)
	global_store_dwordx4 v[0:1], v[17:20], off
	v_mov_b32_e32 v0, v11
	v_mad_u64_u32 v[0:1], null, s1, v15, v[0:1]
	v_mov_b32_e32 v1, v14
	v_mad_u64_u32 v[8:9], null, s1, v16, v[1:2]
	v_mov_b32_e32 v11, v0
	v_add_co_u32 v0, vcc_lo, v63, v2
	v_add_co_ci_u32_e32 v1, vcc_lo, v64, v3, vcc_lo
	v_lshlrev_b64 v[2:3], 4, v[10:11]
	v_mov_b32_e32 v14, v8
	v_add_co_u32 v6, vcc_lo, v63, v6
	v_add_co_ci_u32_e32 v7, vcc_lo, v64, v7, vcc_lo
	v_lshlrev_b64 v[8:9], 4, v[13:14]
	s_clause 0x3
	buffer_load_dword v10, off, s[68:71], 0 offset:80
	buffer_load_dword v11, off, s[68:71], 0 offset:84
	;; [unrolled: 1-line block ×4, first 2 shown]
	v_add_co_u32 v2, vcc_lo, v63, v2
	v_add_co_ci_u32_e32 v3, vcc_lo, v64, v3, vcc_lo
	v_add_co_u32 v8, vcc_lo, v63, v8
	v_add_co_ci_u32_e32 v9, vcc_lo, v64, v9, vcc_lo
	s_waitcnt vmcnt(0)
	global_store_dwordx4 v[4:5], v[10:13], off
	s_clause 0x3
	buffer_load_dword v10, off, s[68:71], 0 offset:64
	buffer_load_dword v11, off, s[68:71], 0 offset:68
	buffer_load_dword v12, off, s[68:71], 0 offset:72
	buffer_load_dword v13, off, s[68:71], 0 offset:76
	s_waitcnt vmcnt(0)
	global_store_dwordx4 v[0:1], v[10:13], off
	s_clause 0x3
	buffer_load_dword v10, off, s[68:71], 0 offset:48
	buffer_load_dword v11, off, s[68:71], 0 offset:52
	buffer_load_dword v12, off, s[68:71], 0 offset:56
	buffer_load_dword v13, off, s[68:71], 0 offset:60
	s_waitcnt vmcnt(0)
	global_store_dwordx4 v[6:7], v[10:13], off
	s_clause 0x3
	buffer_load_dword v4, off, s[68:71], 0 offset:32
	buffer_load_dword v5, off, s[68:71], 0 offset:36
	buffer_load_dword v6, off, s[68:71], 0 offset:40
	buffer_load_dword v7, off, s[68:71], 0 offset:44
	s_waitcnt vmcnt(0)
	global_store_dwordx4 v[2:3], v[4:7], off
	s_clause 0x3
	buffer_load_dword v0, off, s[68:71], 0 offset:16
	buffer_load_dword v1, off, s[68:71], 0 offset:20
	buffer_load_dword v2, off, s[68:71], 0 offset:24
	buffer_load_dword v3, off, s[68:71], 0 offset:28
	s_waitcnt vmcnt(0)
	global_store_dwordx4 v[8:9], v[0:3], off
.LBB0_17:
	s_endpgm
	.section	.rodata,"a",@progbits
	.p2align	6, 0x0
	.amdhsa_kernel fft_rtc_fwd_len289_factors_17_17_wgs_119_tpt_17_dp_op_CI_CI_sbcc_twdbase6_3step_dirReg_intrinsicRead
		.amdhsa_group_segment_fixed_size 0
		.amdhsa_private_segment_fixed_size 884
		.amdhsa_kernarg_size 112
		.amdhsa_user_sgpr_count 6
		.amdhsa_user_sgpr_private_segment_buffer 1
		.amdhsa_user_sgpr_dispatch_ptr 0
		.amdhsa_user_sgpr_queue_ptr 0
		.amdhsa_user_sgpr_kernarg_segment_ptr 1
		.amdhsa_user_sgpr_dispatch_id 0
		.amdhsa_user_sgpr_flat_scratch_init 0
		.amdhsa_user_sgpr_private_segment_size 0
		.amdhsa_wavefront_size32 1
		.amdhsa_uses_dynamic_stack 0
		.amdhsa_system_sgpr_private_segment_wavefront_offset 1
		.amdhsa_system_sgpr_workgroup_id_x 1
		.amdhsa_system_sgpr_workgroup_id_y 0
		.amdhsa_system_sgpr_workgroup_id_z 0
		.amdhsa_system_sgpr_workgroup_info 0
		.amdhsa_system_vgpr_workitem_id 0
		.amdhsa_next_free_vgpr 256
		.amdhsa_next_free_sgpr 72
		.amdhsa_reserve_vcc 1
		.amdhsa_reserve_flat_scratch 0
		.amdhsa_float_round_mode_32 0
		.amdhsa_float_round_mode_16_64 0
		.amdhsa_float_denorm_mode_32 3
		.amdhsa_float_denorm_mode_16_64 3
		.amdhsa_dx10_clamp 1
		.amdhsa_ieee_mode 1
		.amdhsa_fp16_overflow 0
		.amdhsa_workgroup_processor_mode 1
		.amdhsa_memory_ordered 1
		.amdhsa_forward_progress 0
		.amdhsa_shared_vgpr_count 0
		.amdhsa_exception_fp_ieee_invalid_op 0
		.amdhsa_exception_fp_denorm_src 0
		.amdhsa_exception_fp_ieee_div_zero 0
		.amdhsa_exception_fp_ieee_overflow 0
		.amdhsa_exception_fp_ieee_underflow 0
		.amdhsa_exception_fp_ieee_inexact 0
		.amdhsa_exception_int_div_zero 0
	.end_amdhsa_kernel
	.text
.Lfunc_end0:
	.size	fft_rtc_fwd_len289_factors_17_17_wgs_119_tpt_17_dp_op_CI_CI_sbcc_twdbase6_3step_dirReg_intrinsicRead, .Lfunc_end0-fft_rtc_fwd_len289_factors_17_17_wgs_119_tpt_17_dp_op_CI_CI_sbcc_twdbase6_3step_dirReg_intrinsicRead
                                        ; -- End function
	.section	.AMDGPU.csdata,"",@progbits
; Kernel info:
; codeLenInByte = 23620
; NumSgprs: 74
; NumVgprs: 256
; ScratchSize: 884
; MemoryBound: 0
; FloatMode: 240
; IeeeMode: 1
; LDSByteSize: 0 bytes/workgroup (compile time only)
; SGPRBlocks: 9
; VGPRBlocks: 31
; NumSGPRsForWavesPerEU: 74
; NumVGPRsForWavesPerEU: 256
; Occupancy: 4
; WaveLimiterHint : 1
; COMPUTE_PGM_RSRC2:SCRATCH_EN: 1
; COMPUTE_PGM_RSRC2:USER_SGPR: 6
; COMPUTE_PGM_RSRC2:TRAP_HANDLER: 0
; COMPUTE_PGM_RSRC2:TGID_X_EN: 1
; COMPUTE_PGM_RSRC2:TGID_Y_EN: 0
; COMPUTE_PGM_RSRC2:TGID_Z_EN: 0
; COMPUTE_PGM_RSRC2:TIDIG_COMP_CNT: 0
	.text
	.p2alignl 6, 3214868480
	.fill 48, 4, 3214868480
	.type	__hip_cuid_e28bde3ab2ce2864,@object ; @__hip_cuid_e28bde3ab2ce2864
	.section	.bss,"aw",@nobits
	.globl	__hip_cuid_e28bde3ab2ce2864
__hip_cuid_e28bde3ab2ce2864:
	.byte	0                               ; 0x0
	.size	__hip_cuid_e28bde3ab2ce2864, 1

	.ident	"AMD clang version 19.0.0git (https://github.com/RadeonOpenCompute/llvm-project roc-6.4.0 25133 c7fe45cf4b819c5991fe208aaa96edf142730f1d)"
	.section	".note.GNU-stack","",@progbits
	.addrsig
	.addrsig_sym __hip_cuid_e28bde3ab2ce2864
	.amdgpu_metadata
---
amdhsa.kernels:
  - .args:
      - .actual_access:  read_only
        .address_space:  global
        .offset:         0
        .size:           8
        .value_kind:     global_buffer
      - .address_space:  global
        .offset:         8
        .size:           8
        .value_kind:     global_buffer
      - .offset:         16
        .size:           8
        .value_kind:     by_value
      - .actual_access:  read_only
        .address_space:  global
        .offset:         24
        .size:           8
        .value_kind:     global_buffer
      - .actual_access:  read_only
        .address_space:  global
        .offset:         32
        .size:           8
        .value_kind:     global_buffer
      - .actual_access:  read_only
        .address_space:  global
        .offset:         40
        .size:           8
        .value_kind:     global_buffer
      - .offset:         48
        .size:           8
        .value_kind:     by_value
      - .actual_access:  read_only
        .address_space:  global
        .offset:         56
        .size:           8
        .value_kind:     global_buffer
      - .actual_access:  read_only
        .address_space:  global
        .offset:         64
        .size:           8
        .value_kind:     global_buffer
      - .offset:         72
        .size:           4
        .value_kind:     by_value
      - .actual_access:  read_only
        .address_space:  global
        .offset:         80
        .size:           8
        .value_kind:     global_buffer
      - .actual_access:  read_only
        .address_space:  global
        .offset:         88
        .size:           8
        .value_kind:     global_buffer
      - .address_space:  global
        .offset:         96
        .size:           8
        .value_kind:     global_buffer
      - .actual_access:  write_only
        .address_space:  global
        .offset:         104
        .size:           8
        .value_kind:     global_buffer
    .group_segment_fixed_size: 0
    .kernarg_segment_align: 8
    .kernarg_segment_size: 112
    .language:       OpenCL C
    .language_version:
      - 2
      - 0
    .max_flat_workgroup_size: 119
    .name:           fft_rtc_fwd_len289_factors_17_17_wgs_119_tpt_17_dp_op_CI_CI_sbcc_twdbase6_3step_dirReg_intrinsicRead
    .private_segment_fixed_size: 884
    .sgpr_count:     74
    .sgpr_spill_count: 0
    .symbol:         fft_rtc_fwd_len289_factors_17_17_wgs_119_tpt_17_dp_op_CI_CI_sbcc_twdbase6_3step_dirReg_intrinsicRead.kd
    .uniform_work_group_size: 1
    .uses_dynamic_stack: false
    .vgpr_count:     256
    .vgpr_spill_count: 220
    .wavefront_size: 32
    .workgroup_processor_mode: 1
amdhsa.target:   amdgcn-amd-amdhsa--gfx1030
amdhsa.version:
  - 1
  - 2
...

	.end_amdgpu_metadata
